;; amdgpu-corpus repo=ROCm/rocFFT kind=compiled arch=gfx1100 opt=O3
	.text
	.amdgcn_target "amdgcn-amd-amdhsa--gfx1100"
	.amdhsa_code_object_version 6
	.protected	bluestein_single_fwd_len2560_dim1_dp_op_CI_CI ; -- Begin function bluestein_single_fwd_len2560_dim1_dp_op_CI_CI
	.globl	bluestein_single_fwd_len2560_dim1_dp_op_CI_CI
	.p2align	8
	.type	bluestein_single_fwd_len2560_dim1_dp_op_CI_CI,@function
bluestein_single_fwd_len2560_dim1_dp_op_CI_CI: ; @bluestein_single_fwd_len2560_dim1_dp_op_CI_CI
; %bb.0:
	s_mov_b32 s2, s15
	s_load_b128 s[12:15], s[0:1], 0x28
	v_mov_b32_e32 v255, v0
	s_mov_b32 s3, 0
	s_mov_b32 s5, exec_lo
	s_waitcnt lgkmcnt(0)
	v_cmpx_lt_u64_e64 s[2:3], s[12:13]
	s_cbranch_execz .LBB0_2
; %bb.1:
	s_clause 0x1
	s_load_b128 s[4:7], s[0:1], 0x18
	s_load_b128 s[8:11], s[0:1], 0x0
	v_dual_mov_b32 v7, s3 :: v_dual_mov_b32 v6, s2
	s_mov_b32 s20, 0x9b97f4a8
	s_mov_b32 s21, 0x3fe9e377
	;; [unrolled: 1-line block ×4, first 2 shown]
	scratch_store_b64 off, v[6:7], off      ; 8-byte Folded Spill
	s_mov_b32 s24, s20
	s_load_b64 s[0:1], s[0:1], 0x38
	v_lshlrev_b32_e32 v246, 4, v255
	s_delay_alu instid0(VALU_DEP_1)
	v_or_b32_e32 v8, 0x5000, v246
	v_or_b32_e32 v14, 0x7800, v246
	s_waitcnt lgkmcnt(0)
	s_load_b128 s[16:19], s[4:5], 0x0
	s_add_u32 s2, s8, 0xa000
	s_addc_u32 s3, s9, 0
	s_waitcnt lgkmcnt(0)
	v_mad_u64_u32 v[0:1], null, s18, v6, 0
	v_mad_u64_u32 v[2:3], null, s16, v255, 0
	s_mul_i32 s4, s17, 0x2800
	s_mul_hi_u32 s12, s16, 0x2800
	s_mul_i32 s5, s16, 0x2800
	s_add_i32 s4, s12, s4
	s_mul_i32 s13, s17, 0xffff9000
	s_mul_i32 s12, s16, 0xffff9000
	s_delay_alu instid0(VALU_DEP_1) | instskip(SKIP_1) | instid1(VALU_DEP_1)
	v_mad_u64_u32 v[4:5], null, s19, v6, v[1:2]
	s_mov_b32 s19, 0xbfee6f0e
	v_mad_u64_u32 v[5:6], null, s17, v255, v[3:4]
	v_mov_b32_e32 v1, v4
	v_or_b32_e32 v6, 0x2800, v246
	s_delay_alu instid0(VALU_DEP_2) | instskip(NEXT) | instid1(VALU_DEP_4)
	v_lshlrev_b64 v[0:1], 4, v[0:1]
	v_mov_b32_e32 v3, v5
	s_delay_alu instid0(VALU_DEP_2) | instskip(NEXT) | instid1(VALU_DEP_2)
	v_add_co_u32 v0, vcc_lo, s14, v0
	v_lshlrev_b64 v[2:3], 4, v[2:3]
	s_delay_alu instid0(VALU_DEP_4) | instskip(SKIP_3) | instid1(VALU_DEP_2)
	v_add_co_ci_u32_e32 v1, vcc_lo, s15, v1, vcc_lo
	s_mul_hi_u32 s14, s16, 0xffff9000
	s_mov_b32 s15, 0xbfe2cf23
	s_sub_i32 s14, s14, s16
	v_add_co_u32 v4, vcc_lo, v0, v2
	v_add_co_ci_u32_e32 v5, vcc_lo, v1, v3, vcc_lo
	global_load_b128 v[29:32], v246, s[8:9]
	global_load_b128 v[0:3], v[4:5], off
	v_add_co_u32 v4, vcc_lo, v4, s5
	v_add_co_ci_u32_e32 v5, vcc_lo, s4, v5, vcc_lo
	s_add_i32 s13, s14, s13
	s_delay_alu instid0(VALU_DEP_2) | instskip(NEXT) | instid1(VALU_DEP_2)
	v_add_co_u32 v12, vcc_lo, v4, s5
	v_add_co_ci_u32_e32 v13, vcc_lo, s4, v5, vcc_lo
	global_load_b128 v[45:48], v6, s[8:9]
	global_load_b128 v[4:7], v[4:5], off
	global_load_b128 v[41:44], v8, s[8:9]
	global_load_b128 v[8:11], v[12:13], off
	v_add_co_u32 v12, vcc_lo, v12, s5
	v_add_co_ci_u32_e32 v13, vcc_lo, s4, v13, vcc_lo
	global_load_b128 v[33:36], v14, s[8:9]
	v_add_co_u32 v16, vcc_lo, v12, s12
	v_add_co_ci_u32_e32 v17, vcc_lo, s13, v13, vcc_lo
	global_load_b128 v[12:15], v[12:13], off
	global_load_b128 v[37:40], v246, s[8:9] offset:2048
	global_load_b128 v[25:28], v[16:17], off
	v_add_co_u32 v16, vcc_lo, v16, s5
	v_add_co_ci_u32_e32 v17, vcc_lo, s4, v17, vcc_lo
	s_mov_b32 s16, 0x134454ff
	s_mov_b32 s17, 0x3fee6f0e
	;; [unrolled: 1-line block ×3, first 2 shown]
	s_waitcnt vmcnt(9)
	v_mov_b32_e32 v52, v32
	s_waitcnt vmcnt(8)
	v_mul_f64 v[18:19], v[2:3], v[31:32]
	v_dual_mov_b32 v51, v31 :: v_dual_mov_b32 v50, v30
	v_mov_b32_e32 v49, v29
	v_mul_f64 v[20:21], v[0:1], v[31:32]
	s_waitcnt vmcnt(7)
	scratch_store_b128 off, v[45:48], off offset:40 ; 16-byte Folded Spill
	s_waitcnt vmcnt(6)
	v_mul_f64 v[22:23], v[6:7], v[47:48]
	v_mul_f64 v[29:30], v[4:5], v[47:48]
	s_waitcnt vmcnt(4)
	v_mul_f64 v[31:32], v[10:11], v[43:44]
	scratch_store_b128 off, v[41:44], off offset:24 ; 16-byte Folded Spill
	s_waitcnt vmcnt(3)
	scratch_store_b128 off, v[33:36], off offset:8 ; 16-byte Folded Spill
	s_waitcnt vmcnt(1)
	scratch_store_b128 off, v[37:40], off offset:56 ; 16-byte Folded Spill
	v_fma_f64 v[81:82], v[0:1], v[49:50], v[18:19]
	v_mul_f64 v[0:1], v[8:9], v[43:44]
	v_mul_f64 v[18:19], v[12:13], v[35:36]
	v_fma_f64 v[83:84], v[2:3], v[49:50], -v[20:21]
	v_mul_f64 v[2:3], v[14:15], v[35:36]
	s_waitcnt vmcnt(0)
	v_mul_f64 v[20:21], v[27:28], v[39:40]
	v_fma_f64 v[4:5], v[4:5], v[45:46], v[22:23]
	v_or_b32_e32 v22, 0x3000, v246
	v_fma_f64 v[6:7], v[6:7], v[45:46], -v[29:30]
	v_fma_f64 v[8:9], v[8:9], v[41:42], v[31:32]
	global_load_b128 v[29:32], v22, s[8:9]
	v_fma_f64 v[10:11], v[10:11], v[41:42], -v[0:1]
	v_mul_f64 v[0:1], v[25:26], v[39:40]
	v_fma_f64 v[14:15], v[14:15], v[33:34], -v[18:19]
	v_fma_f64 v[12:13], v[12:13], v[33:34], v[2:3]
	v_fma_f64 v[85:86], v[25:26], v[37:38], v[20:21]
	s_delay_alu instid0(VALU_DEP_4)
	v_fma_f64 v[87:88], v[27:28], v[37:38], -v[0:1]
	global_load_b128 v[0:3], v[16:17], off
	v_add_co_u32 v16, vcc_lo, v16, s5
	v_add_co_ci_u32_e32 v17, vcc_lo, s4, v17, vcc_lo
	s_waitcnt vmcnt(0)
	v_mul_f64 v[18:19], v[2:3], v[31:32]
	v_mul_f64 v[20:21], v[0:1], v[31:32]
	s_delay_alu instid0(VALU_DEP_2) | instskip(SKIP_1) | instid1(VALU_DEP_3)
	v_fma_f64 v[89:90], v[0:1], v[29:30], v[18:19]
	v_or_b32_e32 v0, 0x5800, v246
	v_fma_f64 v[91:92], v[2:3], v[29:30], -v[20:21]
	global_load_b128 v[22:25], v0, s[8:9]
	global_load_b128 v[0:3], v[16:17], off
	v_add_co_u32 v16, vcc_lo, v16, s5
	v_add_co_ci_u32_e32 v17, vcc_lo, s4, v17, vcc_lo
	scratch_store_b128 off, v[29:32], off offset:72 ; 16-byte Folded Spill
	s_waitcnt vmcnt(1)
	scratch_store_b128 off, v[22:25], off offset:88 ; 16-byte Folded Spill
	s_waitcnt vmcnt(0)
	v_mul_f64 v[18:19], v[2:3], v[24:25]
	v_mul_f64 v[20:21], v[0:1], v[24:25]
	s_delay_alu instid0(VALU_DEP_2) | instskip(SKIP_1) | instid1(VALU_DEP_3)
	v_fma_f64 v[93:94], v[0:1], v[22:23], v[18:19]
	v_or_b32_e32 v0, 0x8000, v246
	v_fma_f64 v[95:96], v[2:3], v[22:23], -v[20:21]
	global_load_b128 v[22:25], v0, s[8:9]
	global_load_b128 v[0:3], v[16:17], off
	scratch_store_b128 off, v[49:52], off offset:216 ; 16-byte Folded Spill
	s_waitcnt vmcnt(1)
	scratch_store_b128 off, v[22:25], off offset:104 ; 16-byte Folded Spill
	s_waitcnt vmcnt(0)
	v_mul_f64 v[18:19], v[2:3], v[24:25]
	v_mul_f64 v[20:21], v[0:1], v[24:25]
	s_delay_alu instid0(VALU_DEP_2) | instskip(SKIP_2) | instid1(VALU_DEP_4)
	v_fma_f64 v[97:98], v[0:1], v[22:23], v[18:19]
	v_or_b32_e32 v0, 0x100, v255
	v_add_co_u32 v1, vcc_lo, v16, s12
	v_fma_f64 v[99:100], v[2:3], v[22:23], -v[20:21]
	v_add_co_ci_u32_e32 v2, vcc_lo, s13, v17, vcc_lo
	s_delay_alu instid0(VALU_DEP_4)
	v_lshlrev_b32_e32 v3, 4, v0
	global_load_b128 v[37:40], v[1:2], off
	v_add_co_u32 v1, vcc_lo, v1, s5
	global_load_b128 v[20:23], v3, s[8:9]
	scratch_store_b32 off, v3, off offset:236 ; 4-byte Folded Spill
	v_add_co_ci_u32_e32 v2, vcc_lo, s4, v2, vcc_lo
	v_or_b32_e32 v3, 0x3800, v246
	global_load_b128 v[41:44], v[1:2], off
	v_add_co_u32 v1, vcc_lo, v1, s5
	v_add_co_ci_u32_e32 v2, vcc_lo, s4, v2, vcc_lo
	global_load_b128 v[45:48], v[1:2], off
	v_add_co_u32 v1, vcc_lo, v1, s5
	v_add_co_ci_u32_e32 v2, vcc_lo, s4, v2, vcc_lo
	global_load_b128 v[49:52], v[1:2], off
	s_waitcnt vmcnt(3)
	scratch_store_b128 off, v[20:23], off offset:120 ; 16-byte Folded Spill
	v_mul_f64 v[16:17], v[39:40], v[22:23]
	v_mul_f64 v[18:19], v[37:38], v[22:23]
	s_delay_alu instid0(VALU_DEP_2) | instskip(NEXT) | instid1(VALU_DEP_2)
	v_fma_f64 v[101:102], v[37:38], v[20:21], v[16:17]
	v_fma_f64 v[103:104], v[39:40], v[20:21], -v[18:19]
	global_load_b128 v[20:23], v3, s[8:9]
	v_or_b32_e32 v3, 0x6000, v246
	s_waitcnt vmcnt(0)
	v_mul_f64 v[16:17], v[43:44], v[22:23]
	v_mul_f64 v[18:19], v[41:42], v[22:23]
	scratch_store_b128 off, v[20:23], off offset:136 ; 16-byte Folded Spill
	v_fma_f64 v[105:106], v[41:42], v[20:21], v[16:17]
	v_fma_f64 v[107:108], v[43:44], v[20:21], -v[18:19]
	global_load_b128 v[20:23], v3, s[8:9]
	v_or_b32_e32 v3, 0x8800, v246
	s_waitcnt vmcnt(0)
	v_mul_f64 v[16:17], v[47:48], v[22:23]
	v_mul_f64 v[18:19], v[45:46], v[22:23]
	scratch_store_b128 off, v[20:23], off offset:152 ; 16-byte Folded Spill
	v_fma_f64 v[109:110], v[45:46], v[20:21], v[16:17]
	v_fma_f64 v[111:112], v[47:48], v[20:21], -v[18:19]
	global_load_b128 v[20:23], v3, s[8:9]
	v_or_b32_e32 v3, 0x200, v255
	v_lshlrev_b32_e32 v48, 6, v0
	v_lshlrev_b32_e32 v0, 2, v0
	s_waitcnt vmcnt(0)
	v_mul_f64 v[16:17], v[51:52], v[22:23]
	v_mul_f64 v[18:19], v[49:50], v[22:23]
	s_delay_alu instid0(VALU_DEP_2)
	v_fma_f64 v[113:114], v[49:50], v[20:21], v[16:17]
	v_add_co_u32 v16, vcc_lo, v1, s12
	v_add_co_ci_u32_e32 v17, vcc_lo, s13, v2, vcc_lo
	v_or_b32_e32 v2, 0x180, v255
	v_fma_f64 v[115:116], v[51:52], v[20:21], -v[18:19]
	v_lshlrev_b32_e32 v49, 6, v255
	global_load_b128 v[53:56], v[16:17], off
	v_add_co_u32 v16, vcc_lo, v16, s5
	v_lshlrev_b32_e32 v1, 4, v2
	scratch_store_b128 off, v[20:23], off offset:168 ; 16-byte Folded Spill
	v_add_co_ci_u32_e32 v17, vcc_lo, s4, v17, vcc_lo
	scratch_store_b32 off, v1, off offset:240 ; 4-byte Folded Spill
	global_load_b128 v[22:25], v1, s[8:9]
	v_or_b32_e32 v1, 0x4000, v246
	global_load_b128 v[57:60], v[16:17], off
	v_add_co_u32 v16, vcc_lo, v16, s5
	v_add_co_ci_u32_e32 v17, vcc_lo, s4, v17, vcc_lo
	s_waitcnt vmcnt(1)
	v_mul_f64 v[18:19], v[55:56], v[24:25]
	v_mul_f64 v[20:21], v[53:54], v[24:25]
	scratch_store_b128 off, v[22:25], off offset:184 ; 16-byte Folded Spill
	v_fma_f64 v[117:118], v[53:54], v[22:23], v[18:19]
	v_fma_f64 v[119:120], v[55:56], v[22:23], -v[20:21]
	global_load_b128 v[22:25], v1, s[8:9]
	v_or_b32_e32 v1, 0x6800, v246
	s_waitcnt vmcnt(0)
	scratch_store_b128 off, v[22:25], off offset:200 ; 16-byte Folded Spill
	global_load_b128 v[251:254], v1, s[8:9]
	global_load_b128 v[61:64], v[16:17], off
	v_add_co_u32 v16, vcc_lo, v16, s5
	v_or_b32_e32 v1, 0x9000, v246
	v_add_co_ci_u32_e32 v17, vcc_lo, s4, v17, vcc_lo
	global_load_b128 v[247:250], v1, s[8:9]
	global_load_b128 v[65:68], v[16:17], off
	v_mul_f64 v[18:19], v[59:60], v[24:25]
	v_mul_f64 v[20:21], v[57:58], v[24:25]
	v_add_co_u32 v16, vcc_lo, v16, s12
	v_lshlrev_b32_e32 v1, 4, v3
	v_add_co_ci_u32_e32 v17, vcc_lo, s13, v17, vcc_lo
	s_mov_b32 s12, 0x372fe950
	s_mov_b32 s13, 0x3fd3c6ef
	scratch_store_b32 off, v1, off offset:232 ; 4-byte Folded Spill
	s_mov_b32 s22, s12
	v_fma_f64 v[121:122], v[57:58], v[22:23], v[18:19]
	v_fma_f64 v[123:124], v[59:60], v[22:23], -v[20:21]
	s_waitcnt vmcnt(2)
	v_mul_f64 v[18:19], v[63:64], v[253:254]
	v_mul_f64 v[20:21], v[61:62], v[253:254]
	s_delay_alu instid0(VALU_DEP_2) | instskip(NEXT) | instid1(VALU_DEP_2)
	v_fma_f64 v[125:126], v[61:62], v[251:252], v[18:19]
	v_fma_f64 v[127:128], v[63:64], v[251:252], -v[20:21]
	s_waitcnt vmcnt(0)
	v_mul_f64 v[18:19], v[67:68], v[249:250]
	v_mul_f64 v[20:21], v[65:66], v[249:250]
	s_delay_alu instid0(VALU_DEP_2) | instskip(NEXT) | instid1(VALU_DEP_2)
	v_fma_f64 v[129:130], v[65:66], v[247:248], v[18:19]
	v_fma_f64 v[131:132], v[67:68], v[247:248], -v[20:21]
	global_load_b128 v[65:68], v1, s[8:9]
	global_load_b128 v[69:72], v[16:17], off
	v_add_co_u32 v16, vcc_lo, v16, s5
	v_or_b32_e32 v1, 0x4800, v246
	v_add_co_ci_u32_e32 v17, vcc_lo, s4, v17, vcc_lo
	s_waitcnt vmcnt(0)
	v_mul_f64 v[18:19], v[71:72], v[67:68]
	v_mul_f64 v[20:21], v[69:70], v[67:68]
	s_delay_alu instid0(VALU_DEP_2) | instskip(NEXT) | instid1(VALU_DEP_2)
	v_fma_f64 v[133:134], v[69:70], v[65:66], v[18:19]
	v_fma_f64 v[135:136], v[71:72], v[65:66], -v[20:21]
	global_load_b128 v[69:72], v1, s[8:9]
	global_load_b128 v[73:76], v[16:17], off
	v_add_co_u32 v16, vcc_lo, v16, s5
	v_or_b32_e32 v1, 0x7000, v246
	v_add_co_ci_u32_e32 v17, vcc_lo, s4, v17, vcc_lo
	s_waitcnt vmcnt(0)
	v_mul_f64 v[18:19], v[75:76], v[71:72]
	v_mul_f64 v[20:21], v[73:74], v[71:72]
	s_delay_alu instid0(VALU_DEP_2) | instskip(NEXT) | instid1(VALU_DEP_2)
	v_fma_f64 v[137:138], v[73:74], v[69:70], v[18:19]
	v_fma_f64 v[139:140], v[75:76], v[69:70], -v[20:21]
	global_load_b128 v[73:76], v1, s[8:9]
	global_load_b128 v[77:80], v[16:17], off
	v_add_co_u32 v16, vcc_lo, v16, s5
	v_add_co_ci_u32_e32 v17, vcc_lo, s4, v17, vcc_lo
	v_or_b32_e32 v1, 0x9800, v246
	s_waitcnt vmcnt(0)
	v_mul_f64 v[18:19], v[79:80], v[75:76]
	v_mul_f64 v[20:21], v[77:78], v[75:76]
	s_delay_alu instid0(VALU_DEP_2) | instskip(NEXT) | instid1(VALU_DEP_2)
	v_fma_f64 v[141:142], v[77:78], v[73:74], v[18:19]
	v_fma_f64 v[143:144], v[79:80], v[73:74], -v[20:21]
	global_load_b128 v[145:148], v[16:17], off
	global_load_b128 v[77:80], v1, s[8:9]
	v_lshlrev_b32_e32 v1, 6, v3
	s_mov_b32 s8, 0x4755a5e
	s_mov_b32 s9, 0x3fe2cf23
	;; [unrolled: 1-line block ×3, first 2 shown]
	s_waitcnt vmcnt(0)
	v_mul_f64 v[16:17], v[147:148], v[79:80]
	v_mul_f64 v[18:19], v[145:146], v[79:80]
	s_delay_alu instid0(VALU_DEP_2) | instskip(NEXT) | instid1(VALU_DEP_2)
	v_fma_f64 v[145:146], v[145:146], v[77:78], v[16:17]
	v_fma_f64 v[147:148], v[147:148], v[77:78], -v[18:19]
	ds_store_b128 v246, v[81:84]
	ds_store_b128 v246, v[4:7] offset:10240
	ds_store_b128 v246, v[8:11] offset:20480
	;; [unrolled: 1-line block ×19, first 2 shown]
	s_load_b128 s[4:7], s[6:7], 0x0
	s_waitcnt lgkmcnt(0)
	s_waitcnt_vscnt null, 0x0
	s_barrier
	buffer_gl0_inv
	ds_load_b128 v[4:7], v246 offset:32768
	ds_load_b128 v[8:11], v246 offset:12288
	s_waitcnt lgkmcnt(0)
	v_add_f64 v[16:17], v[8:9], -v[4:5]
	v_add_f64 v[18:19], v[10:11], -v[6:7]
	ds_load_b128 v[4:7], v246 offset:2048
	ds_load_b128 v[12:15], v246 offset:22528
	s_waitcnt lgkmcnt(0)
	v_add_f64 v[12:13], v[4:5], -v[12:13]
	v_add_f64 v[14:15], v[6:7], -v[14:15]
	v_fma_f64 v[20:21], v[8:9], 2.0, -v[16:17]
	v_fma_f64 v[22:23], v[10:11], 2.0, -v[18:19]
	s_delay_alu instid0(VALU_DEP_4) | instskip(NEXT) | instid1(VALU_DEP_4)
	v_add_f64 v[8:9], v[12:13], -v[18:19]
	v_add_f64 v[10:11], v[14:15], v[16:17]
	v_fma_f64 v[17:18], v[4:5], 2.0, -v[12:13]
	v_fma_f64 v[24:25], v[6:7], 2.0, -v[14:15]
	v_lshlrev_b32_e32 v19, 6, v2
	v_lshlrev_b32_e32 v2, 2, v2
	v_fma_f64 v[4:5], v[12:13], 2.0, -v[8:9]
	v_fma_f64 v[6:7], v[14:15], 2.0, -v[10:11]
	ds_load_b128 v[13:16], v246 offset:20480
	ds_load_b128 v[81:84], v246
	ds_load_b128 v[85:88], v246 offset:10240
	ds_load_b128 v[89:92], v246 offset:30720
	;; [unrolled: 1-line block ×14, first 2 shown]
	v_or_b32_e32 v12, 0x80, v255
	s_waitcnt lgkmcnt(0)
	s_barrier
	buffer_gl0_inv
	v_lshlrev_b32_e32 v64, 6, v12
	v_add_f64 v[13:14], v[81:82], -v[13:14]
	v_add_f64 v[15:16], v[83:84], -v[15:16]
	;; [unrolled: 1-line block ×3, first 2 shown]
	ds_store_b128 v64, v[8:11] offset:48
	v_add_f64 v[10:11], v[101:102], -v[105:106]
	v_add_f64 v[8:9], v[103:104], -v[107:108]
	;; [unrolled: 1-line block ×3, first 2 shown]
	v_fma_f64 v[56:57], v[81:82], 2.0, -v[13:14]
	v_fma_f64 v[58:59], v[83:84], 2.0, -v[15:16]
	;; [unrolled: 1-line block ×5, first 2 shown]
	v_add_f64 v[8:9], v[26:27], -v[8:9]
	v_add_f64 v[10:11], v[28:29], v[10:11]
	v_fma_f64 v[36:37], v[95:96], 2.0, -v[28:29]
	s_delay_alu instid0(VALU_DEP_3) | instskip(NEXT) | instid1(VALU_DEP_3)
	v_fma_f64 v[93:94], v[26:27], 2.0, -v[8:9]
	v_fma_f64 v[95:96], v[28:29], 2.0, -v[10:11]
	ds_store_b128 v48, v[8:11] offset:48
	v_add_f64 v[10:11], v[117:118], -v[121:122]
	v_add_f64 v[8:9], v[119:120], -v[123:124]
	v_add_f64 v[26:27], v[109:110], -v[113:114]
	v_add_f64 v[28:29], v[111:112], -v[115:116]
	s_delay_alu instid0(VALU_DEP_4) | instskip(NEXT) | instid1(VALU_DEP_4)
	v_fma_f64 v[38:39], v[117:118], 2.0, -v[10:11]
	v_fma_f64 v[40:41], v[119:120], 2.0, -v[8:9]
	s_delay_alu instid0(VALU_DEP_4) | instskip(NEXT) | instid1(VALU_DEP_4)
	v_add_f64 v[8:9], v[26:27], -v[8:9]
	v_add_f64 v[10:11], v[28:29], v[10:11]
	v_fma_f64 v[42:43], v[109:110], 2.0, -v[26:27]
	v_fma_f64 v[44:45], v[111:112], 2.0, -v[28:29]
	s_delay_alu instid0(VALU_DEP_4) | instskip(NEXT) | instid1(VALU_DEP_4)
	v_fma_f64 v[97:98], v[26:27], 2.0, -v[8:9]
	v_fma_f64 v[99:100], v[28:29], 2.0, -v[10:11]
	ds_store_b128 v19, v[8:11] offset:48
	v_add_f64 v[10:11], v[133:134], -v[137:138]
	v_add_f64 v[8:9], v[135:136], -v[139:140]
	;; [unrolled: 1-line block ×4, first 2 shown]
	s_delay_alu instid0(VALU_DEP_4) | instskip(NEXT) | instid1(VALU_DEP_4)
	v_fma_f64 v[46:47], v[133:134], 2.0, -v[10:11]
	v_fma_f64 v[50:51], v[135:136], 2.0, -v[8:9]
	s_delay_alu instid0(VALU_DEP_4) | instskip(NEXT) | instid1(VALU_DEP_4)
	v_add_f64 v[8:9], v[26:27], -v[8:9]
	v_add_f64 v[10:11], v[28:29], v[10:11]
	v_fma_f64 v[52:53], v[125:126], 2.0, -v[26:27]
	v_fma_f64 v[54:55], v[127:128], 2.0, -v[28:29]
	s_delay_alu instid0(VALU_DEP_4) | instskip(NEXT) | instid1(VALU_DEP_4)
	v_fma_f64 v[101:102], v[26:27], 2.0, -v[8:9]
	v_fma_f64 v[103:104], v[28:29], 2.0, -v[10:11]
	ds_store_b128 v1, v[8:11] offset:48
	v_add_f64 v[10:11], v[85:86], -v[89:90]
	v_add_f64 v[8:9], v[87:88], -v[91:92]
	s_delay_alu instid0(VALU_DEP_2) | instskip(NEXT) | instid1(VALU_DEP_2)
	v_fma_f64 v[26:27], v[85:86], 2.0, -v[10:11]
	v_fma_f64 v[28:29], v[87:88], 2.0, -v[8:9]
	v_add_f64 v[8:9], v[13:14], -v[8:9]
	v_add_f64 v[10:11], v[15:16], v[10:11]
	s_delay_alu instid0(VALU_DEP_2) | instskip(NEXT) | instid1(VALU_DEP_2)
	v_fma_f64 v[13:14], v[13:14], 2.0, -v[8:9]
	v_fma_f64 v[15:16], v[15:16], 2.0, -v[10:11]
	ds_store_b128 v49, v[8:11] offset:48
	ds_store_b128 v49, v[13:16] offset:16
	v_add_f64 v[8:9], v[56:57], -v[26:27]
	v_add_f64 v[10:11], v[58:59], -v[28:29]
	ds_store_b128 v49, v[8:11] offset:32
	ds_store_b128 v64, v[4:7] offset:16
	v_add_f64 v[4:5], v[17:18], -v[20:21]
	v_add_f64 v[6:7], v[24:25], -v[22:23]
	v_fma_f64 v[13:14], v[56:57], 2.0, -v[8:9]
	v_fma_f64 v[15:16], v[58:59], 2.0, -v[10:11]
	s_clause 0x2
	scratch_store_b32 off, v48, off offset:252
	scratch_store_b32 off, v19, off offset:248
	;; [unrolled: 1-line block ×3, first 2 shown]
	ds_store_b128 v19, v[97:100] offset:16
	ds_store_b128 v1, v[101:104] offset:16
	v_fma_f64 v[8:9], v[17:18], 2.0, -v[4:5]
	v_fma_f64 v[10:11], v[24:25], 2.0, -v[6:7]
	ds_store_b128 v64, v[4:7] offset:32
	v_add_f64 v[4:5], v[34:35], -v[30:31]
	v_add_f64 v[6:7], v[36:37], -v[32:33]
	s_delay_alu instid0(VALU_DEP_2) | instskip(NEXT) | instid1(VALU_DEP_2)
	v_fma_f64 v[81:82], v[34:35], 2.0, -v[4:5]
	v_fma_f64 v[83:84], v[36:37], 2.0, -v[6:7]
	ds_store_b128 v48, v[4:7] offset:32
	v_add_f64 v[4:5], v[42:43], -v[38:39]
	v_add_f64 v[6:7], v[44:45], -v[40:41]
	ds_store_b128 v48, v[93:96] offset:16
	v_fma_f64 v[85:86], v[42:43], 2.0, -v[4:5]
	ds_store_b128 v19, v[4:7] offset:32
	v_fma_f64 v[87:88], v[44:45], 2.0, -v[6:7]
	v_add_f64 v[4:5], v[52:53], -v[46:47]
	v_add_f64 v[6:7], v[54:55], -v[50:51]
	s_delay_alu instid0(VALU_DEP_2) | instskip(NEXT) | instid1(VALU_DEP_2)
	v_fma_f64 v[89:90], v[52:53], 2.0, -v[4:5]
	v_fma_f64 v[91:92], v[54:55], 2.0, -v[6:7]
	ds_store_b128 v1, v[4:7] offset:32
	ds_store_b128 v49, v[8:11] offset:8192
	;; [unrolled: 1-line block ×4, first 2 shown]
	ds_store_b128 v49, v[13:16]
	ds_store_b128 v49, v[89:92] offset:32768
	v_and_b32_e32 v10, 3, v255
	s_waitcnt lgkmcnt(0)
	s_waitcnt_vscnt null, 0x0
	s_barrier
	buffer_gl0_inv
	ds_load_b128 v[4:7], v246 offset:10240
	v_mad_u64_u32 v[8:9], null, v10, 48, s[10:11]
	s_clause 0x2
	global_load_b128 v[85:88], v[8:9], off
	global_load_b128 v[93:96], v[8:9], off offset:16
	global_load_b128 v[89:92], v[8:9], off offset:32
	s_waitcnt vmcnt(2) lgkmcnt(0)
	v_mul_f64 v[13:14], v[6:7], v[87:88]
	s_delay_alu instid0(VALU_DEP_1) | instskip(SKIP_1) | instid1(VALU_DEP_1)
	v_fma_f64 v[81:82], v[4:5], v[85:86], -v[13:14]
	v_mul_f64 v[4:5], v[4:5], v[87:88]
	v_fma_f64 v[83:84], v[6:7], v[85:86], v[4:5]
	ds_load_b128 v[4:7], v246 offset:20480
	s_waitcnt vmcnt(1) lgkmcnt(0)
	v_mul_f64 v[13:14], v[6:7], v[95:96]
	s_delay_alu instid0(VALU_DEP_1) | instskip(SKIP_1) | instid1(VALU_DEP_1)
	v_fma_f64 v[13:14], v[4:5], v[93:94], -v[13:14]
	v_mul_f64 v[4:5], v[4:5], v[95:96]
	v_fma_f64 v[15:16], v[6:7], v[93:94], v[4:5]
	ds_load_b128 v[4:7], v246 offset:30720
	s_waitcnt vmcnt(0) lgkmcnt(0)
	v_mul_f64 v[8:9], v[6:7], v[91:92]
	s_delay_alu instid0(VALU_DEP_1) | instskip(SKIP_1) | instid1(VALU_DEP_2)
	v_fma_f64 v[8:9], v[4:5], v[89:90], -v[8:9]
	v_mul_f64 v[4:5], v[4:5], v[91:92]
	v_add_f64 v[8:9], v[81:82], -v[8:9]
	s_delay_alu instid0(VALU_DEP_2) | instskip(SKIP_4) | instid1(VALU_DEP_2)
	v_fma_f64 v[17:18], v[6:7], v[89:90], v[4:5]
	ds_load_b128 v[4:7], v246 offset:12288
	s_waitcnt lgkmcnt(0)
	v_mul_f64 v[19:20], v[6:7], v[87:88]
	v_add_f64 v[17:18], v[83:84], -v[17:18]
	v_fma_f64 v[97:98], v[4:5], v[85:86], -v[19:20]
	v_mul_f64 v[4:5], v[4:5], v[87:88]
	s_delay_alu instid0(VALU_DEP_1) | instskip(SKIP_3) | instid1(VALU_DEP_1)
	v_fma_f64 v[99:100], v[6:7], v[85:86], v[4:5]
	ds_load_b128 v[4:7], v246 offset:22528
	s_waitcnt lgkmcnt(0)
	v_mul_f64 v[19:20], v[6:7], v[95:96]
	v_fma_f64 v[113:114], v[4:5], v[93:94], -v[19:20]
	v_mul_f64 v[4:5], v[4:5], v[95:96]
	s_delay_alu instid0(VALU_DEP_1) | instskip(SKIP_3) | instid1(VALU_DEP_1)
	v_fma_f64 v[129:130], v[6:7], v[93:94], v[4:5]
	ds_load_b128 v[4:7], v246 offset:32768
	s_waitcnt lgkmcnt(0)
	v_mul_f64 v[19:20], v[6:7], v[91:92]
	v_fma_f64 v[115:116], v[4:5], v[89:90], -v[19:20]
	v_mul_f64 v[4:5], v[4:5], v[91:92]
	s_delay_alu instid0(VALU_DEP_2) | instskip(NEXT) | instid1(VALU_DEP_2)
	v_add_f64 v[31:32], v[97:98], -v[115:116]
	v_fma_f64 v[137:138], v[6:7], v[89:90], v[4:5]
	ds_load_b128 v[4:7], v246 offset:14336
	s_waitcnt lgkmcnt(0)
	v_mul_f64 v[19:20], v[6:7], v[87:88]
	v_add_f64 v[29:30], v[99:100], -v[137:138]
	s_delay_alu instid0(VALU_DEP_2) | instskip(SKIP_1) | instid1(VALU_DEP_1)
	v_fma_f64 v[101:102], v[4:5], v[85:86], -v[19:20]
	v_mul_f64 v[4:5], v[4:5], v[87:88]
	v_fma_f64 v[103:104], v[6:7], v[85:86], v[4:5]
	ds_load_b128 v[4:7], v246 offset:24576
	s_waitcnt lgkmcnt(0)
	v_mul_f64 v[19:20], v[6:7], v[95:96]
	s_delay_alu instid0(VALU_DEP_1) | instskip(SKIP_1) | instid1(VALU_DEP_1)
	v_fma_f64 v[117:118], v[4:5], v[93:94], -v[19:20]
	v_mul_f64 v[4:5], v[4:5], v[95:96]
	v_fma_f64 v[131:132], v[6:7], v[93:94], v[4:5]
	ds_load_b128 v[4:7], v246 offset:34816
	s_waitcnt lgkmcnt(0)
	v_mul_f64 v[19:20], v[6:7], v[91:92]
	s_delay_alu instid0(VALU_DEP_1) | instskip(SKIP_1) | instid1(VALU_DEP_2)
	v_fma_f64 v[119:120], v[4:5], v[89:90], -v[19:20]
	v_mul_f64 v[4:5], v[4:5], v[91:92]
	v_add_f64 v[39:40], v[101:102], -v[119:120]
	s_delay_alu instid0(VALU_DEP_2) | instskip(SKIP_4) | instid1(VALU_DEP_2)
	v_fma_f64 v[139:140], v[6:7], v[89:90], v[4:5]
	ds_load_b128 v[4:7], v246 offset:16384
	s_waitcnt lgkmcnt(0)
	v_mul_f64 v[19:20], v[6:7], v[87:88]
	v_add_f64 v[37:38], v[103:104], -v[139:140]
	v_fma_f64 v[105:106], v[4:5], v[85:86], -v[19:20]
	v_mul_f64 v[4:5], v[4:5], v[87:88]
	s_delay_alu instid0(VALU_DEP_1) | instskip(SKIP_3) | instid1(VALU_DEP_1)
	v_fma_f64 v[107:108], v[6:7], v[85:86], v[4:5]
	ds_load_b128 v[4:7], v246 offset:26624
	s_waitcnt lgkmcnt(0)
	v_mul_f64 v[19:20], v[6:7], v[95:96]
	v_fma_f64 v[121:122], v[4:5], v[93:94], -v[19:20]
	v_mul_f64 v[4:5], v[4:5], v[95:96]
	s_delay_alu instid0(VALU_DEP_1) | instskip(SKIP_3) | instid1(VALU_DEP_1)
	v_fma_f64 v[133:134], v[6:7], v[93:94], v[4:5]
	ds_load_b128 v[4:7], v246 offset:36864
	s_waitcnt lgkmcnt(0)
	v_mul_f64 v[19:20], v[6:7], v[91:92]
	v_fma_f64 v[123:124], v[4:5], v[89:90], -v[19:20]
	v_mul_f64 v[4:5], v[4:5], v[91:92]
	s_delay_alu instid0(VALU_DEP_2) | instskip(NEXT) | instid1(VALU_DEP_2)
	v_add_f64 v[47:48], v[105:106], -v[123:124]
	v_fma_f64 v[141:142], v[6:7], v[89:90], v[4:5]
	ds_load_b128 v[4:7], v246 offset:18432
	s_waitcnt lgkmcnt(0)
	v_mul_f64 v[19:20], v[6:7], v[87:88]
	v_add_f64 v[45:46], v[107:108], -v[141:142]
	s_delay_alu instid0(VALU_DEP_2) | instskip(SKIP_1) | instid1(VALU_DEP_1)
	v_fma_f64 v[109:110], v[4:5], v[85:86], -v[19:20]
	v_mul_f64 v[4:5], v[4:5], v[87:88]
	v_fma_f64 v[111:112], v[6:7], v[85:86], v[4:5]
	ds_load_b128 v[4:7], v246 offset:28672
	s_waitcnt lgkmcnt(0)
	v_mul_f64 v[19:20], v[6:7], v[95:96]
	s_delay_alu instid0(VALU_DEP_1) | instskip(SKIP_1) | instid1(VALU_DEP_1)
	v_fma_f64 v[125:126], v[4:5], v[93:94], -v[19:20]
	v_mul_f64 v[4:5], v[4:5], v[95:96]
	v_fma_f64 v[135:136], v[6:7], v[93:94], v[4:5]
	ds_load_b128 v[4:7], v246 offset:38912
	s_waitcnt lgkmcnt(0)
	v_mul_f64 v[19:20], v[6:7], v[91:92]
	s_delay_alu instid0(VALU_DEP_1) | instskip(SKIP_1) | instid1(VALU_DEP_2)
	v_fma_f64 v[127:128], v[4:5], v[89:90], -v[19:20]
	v_mul_f64 v[4:5], v[4:5], v[91:92]
	v_add_f64 v[52:53], v[109:110], -v[127:128]
	s_delay_alu instid0(VALU_DEP_2)
	v_fma_f64 v[143:144], v[6:7], v[89:90], v[4:5]
	ds_load_b128 v[4:7], v246
	ds_load_b128 v[149:152], v246 offset:2048
	ds_load_b128 v[153:156], v246 offset:8192
	;; [unrolled: 1-line block ×4, first 2 shown]
	s_waitcnt lgkmcnt(0)
	s_barrier
	buffer_gl0_inv
	v_add_f64 v[19:20], v[4:5], -v[13:14]
	v_add_f64 v[21:22], v[6:7], -v[15:16]
	;; [unrolled: 1-line block ×3, first 2 shown]
	s_delay_alu instid0(VALU_DEP_3) | instskip(NEXT) | instid1(VALU_DEP_3)
	v_add_f64 v[13:14], v[19:20], -v[17:18]
	v_add_f64 v[15:16], v[21:22], v[8:9]
	v_fma_f64 v[23:24], v[4:5], 2.0, -v[19:20]
	v_fma_f64 v[6:7], v[6:7], 2.0, -v[21:22]
	v_lshlrev_b32_e32 v4, 2, v255
	v_lshlrev_b32_e32 v5, 2, v12
	v_fma_f64 v[8:9], v[81:82], 2.0, -v[8:9]
	s_delay_alu instid0(VALU_DEP_3) | instskip(NEXT) | instid1(VALU_DEP_1)
	v_and_or_b32 v1, 0x1f0, v4, v10
	v_lshlrev_b32_e32 v61, 4, v1
	s_delay_alu instid0(VALU_DEP_4) | instskip(NEXT) | instid1(VALU_DEP_1)
	v_and_or_b32 v1, 0x3f0, v5, v10
	v_lshlrev_b32_e32 v63, 4, v1
	v_and_or_b32 v1, 0x5f0, v0, v10
	s_delay_alu instid0(VALU_DEP_1) | instskip(SKIP_1) | instid1(VALU_DEP_1)
	v_lshlrev_b32_e32 v62, 4, v1
	v_and_or_b32 v1, 0x7f0, v2, v10
	v_lshlrev_b32_e32 v60, 4, v1
	v_fma_f64 v[145:146], v[19:20], 2.0, -v[13:14]
	v_fma_f64 v[147:148], v[21:22], 2.0, -v[15:16]
	v_add_f64 v[19:20], v[149:150], -v[113:114]
	v_add_f64 v[21:22], v[151:152], -v[129:130]
	ds_store_b128 v61, v[13:16] offset:192
	v_add_f64 v[81:82], v[23:24], -v[8:9]
	v_fma_f64 v[8:9], v[99:100], 2.0, -v[29:30]
	v_add_f64 v[13:14], v[19:20], -v[29:30]
	v_add_f64 v[15:16], v[21:22], v[31:32]
	v_fma_f64 v[25:26], v[149:150], 2.0, -v[19:20]
	v_fma_f64 v[27:28], v[151:152], 2.0, -v[21:22]
	s_delay_alu instid0(VALU_DEP_4) | instskip(NEXT) | instid1(VALU_DEP_4)
	v_fma_f64 v[113:114], v[19:20], 2.0, -v[13:14]
	v_fma_f64 v[115:116], v[21:22], 2.0, -v[15:16]
	v_add_f64 v[19:20], v[157:158], -v[117:118]
	v_add_f64 v[21:22], v[159:160], -v[131:132]
	ds_store_b128 v63, v[13:16] offset:192
	v_add_f64 v[13:14], v[19:20], -v[37:38]
	v_add_f64 v[15:16], v[21:22], v[39:40]
	v_fma_f64 v[33:34], v[157:158], 2.0, -v[19:20]
	v_fma_f64 v[35:36], v[159:160], 2.0, -v[21:22]
	s_delay_alu instid0(VALU_DEP_4) | instskip(NEXT) | instid1(VALU_DEP_4)
	v_fma_f64 v[117:118], v[19:20], 2.0, -v[13:14]
	v_fma_f64 v[119:120], v[21:22], 2.0, -v[15:16]
	v_add_f64 v[19:20], v[161:162], -v[121:122]
	v_add_f64 v[21:22], v[163:164], -v[133:134]
	ds_store_b128 v62, v[13:16] offset:192
	v_add_f64 v[13:14], v[19:20], -v[45:46]
	v_add_f64 v[15:16], v[21:22], v[47:48]
	v_fma_f64 v[41:42], v[161:162], 2.0, -v[19:20]
	v_fma_f64 v[43:44], v[163:164], 2.0, -v[21:22]
	s_delay_alu instid0(VALU_DEP_4) | instskip(SKIP_4) | instid1(VALU_DEP_3)
	v_fma_f64 v[121:122], v[19:20], 2.0, -v[13:14]
	ds_store_b128 v60, v[13:16] offset:192
	v_add_f64 v[13:14], v[153:154], -v[125:126]
	v_fma_f64 v[123:124], v[21:22], 2.0, -v[15:16]
	v_add_f64 v[15:16], v[155:156], -v[135:136]
	v_add_f64 v[125:126], v[13:14], -v[50:51]
	v_fma_f64 v[19:20], v[153:154], 2.0, -v[13:14]
	s_delay_alu instid0(VALU_DEP_3) | instskip(SKIP_1) | instid1(VALU_DEP_4)
	v_add_f64 v[127:128], v[15:16], v[52:53]
	v_fma_f64 v[21:22], v[155:156], 2.0, -v[15:16]
	v_fma_f64 v[129:130], v[13:14], 2.0, -v[125:126]
	v_lshlrev_b32_e32 v14, 2, v3
	s_delay_alu instid0(VALU_DEP_4) | instskip(SKIP_1) | instid1(VALU_DEP_3)
	v_fma_f64 v[131:132], v[15:16], 2.0, -v[127:128]
	v_and_b32_e32 v15, 15, v255
	v_and_or_b32 v1, 0x9f0, v14, v10
	v_fma_f64 v[10:11], v[83:84], 2.0, -v[17:18]
	s_delay_alu instid0(VALU_DEP_3) | instskip(NEXT) | instid1(VALU_DEP_3)
	v_and_or_b32 v0, 0x5c0, v0, v15
	v_lshlrev_b32_e32 v205, 4, v1
	v_and_or_b32 v1, 0x1c0, v4, v15
	s_delay_alu instid0(VALU_DEP_4)
	v_add_f64 v[83:84], v[6:7], -v[10:11]
	ds_store_b128 v205, v[125:128] offset:192
	v_fma_f64 v[125:126], v[23:24], 2.0, -v[81:82]
	ds_store_b128 v61, v[81:84] offset:128
	v_fma_f64 v[127:128], v[6:7], 2.0, -v[83:84]
	v_fma_f64 v[6:7], v[97:98], 2.0, -v[31:32]
	v_add_f64 v[83:84], v[27:28], -v[8:9]
	v_fma_f64 v[8:9], v[103:104], 2.0, -v[37:38]
	s_delay_alu instid0(VALU_DEP_3) | instskip(SKIP_1) | instid1(VALU_DEP_4)
	v_add_f64 v[81:82], v[25:26], -v[6:7]
	v_fma_f64 v[6:7], v[101:102], 2.0, -v[39:40]
	v_fma_f64 v[99:100], v[27:28], 2.0, -v[83:84]
	s_delay_alu instid0(VALU_DEP_3)
	v_fma_f64 v[97:98], v[25:26], 2.0, -v[81:82]
	ds_store_b128 v63, v[81:84] offset:128
	v_add_f64 v[81:82], v[33:34], -v[6:7]
	v_add_f64 v[83:84], v[35:36], -v[8:9]
	v_fma_f64 v[6:7], v[105:106], 2.0, -v[47:48]
	v_fma_f64 v[8:9], v[107:108], 2.0, -v[45:46]
	s_delay_alu instid0(VALU_DEP_4) | instskip(NEXT) | instid1(VALU_DEP_4)
	v_fma_f64 v[101:102], v[33:34], 2.0, -v[81:82]
	v_fma_f64 v[103:104], v[35:36], 2.0, -v[83:84]
	ds_store_b128 v62, v[81:84] offset:128
	v_add_f64 v[81:82], v[41:42], -v[6:7]
	v_add_f64 v[83:84], v[43:44], -v[8:9]
	v_fma_f64 v[6:7], v[109:110], 2.0, -v[52:53]
	v_fma_f64 v[8:9], v[111:112], 2.0, -v[50:51]
	v_lshlrev_b32_e32 v51, 4, v0
	v_fma_f64 v[105:106], v[41:42], 2.0, -v[81:82]
	v_fma_f64 v[107:108], v[43:44], 2.0, -v[83:84]
	ds_store_b128 v60, v[81:84] offset:128
	v_add_f64 v[81:82], v[19:20], -v[6:7]
	v_add_f64 v[83:84], v[21:22], -v[8:9]
	v_mad_u64_u32 v[6:7], null, v15, 48, s[10:11]
	s_delay_alu instid0(VALU_DEP_3) | instskip(NEXT) | instid1(VALU_DEP_3)
	v_fma_f64 v[109:110], v[19:20], 2.0, -v[81:82]
	v_fma_f64 v[111:112], v[21:22], 2.0, -v[83:84]
	ds_store_b128 v205, v[81:84] offset:128
	ds_store_b128 v61, v[145:148] offset:64
	;; [unrolled: 1-line block ×6, first 2 shown]
	ds_store_b128 v61, v[125:128]
	ds_store_b128 v63, v[97:100]
	;; [unrolled: 1-line block ×5, first 2 shown]
	s_waitcnt lgkmcnt(0)
	s_barrier
	buffer_gl0_inv
	s_clause 0x1
	global_load_b128 v[97:100], v[6:7], off offset:192
	global_load_b128 v[105:108], v[6:7], off offset:208
	ds_load_b128 v[101:104], v246 offset:10240
	ds_load_b128 v[109:112], v246 offset:30720
	;; [unrolled: 1-line block ×4, first 2 shown]
	s_waitcnt vmcnt(1) lgkmcnt(3)
	v_mul_f64 v[8:9], v[103:104], v[99:100]
	s_delay_alu instid0(VALU_DEP_1) | instskip(SKIP_1) | instid1(VALU_DEP_1)
	v_fma_f64 v[81:82], v[101:102], v[97:98], -v[8:9]
	v_mul_f64 v[8:9], v[101:102], v[99:100]
	v_fma_f64 v[83:84], v[103:104], v[97:98], v[8:9]
	ds_load_b128 v[101:104], v246 offset:20480
	s_waitcnt vmcnt(0) lgkmcnt(0)
	v_mul_f64 v[8:9], v[103:104], v[107:108]
	v_mul_f64 v[10:11], v[101:102], v[107:108]
	s_delay_alu instid0(VALU_DEP_2) | instskip(NEXT) | instid1(VALU_DEP_2)
	v_fma_f64 v[8:9], v[101:102], v[105:106], -v[8:9]
	v_fma_f64 v[10:11], v[103:104], v[105:106], v[10:11]
	global_load_b128 v[101:104], v[6:7], off offset:224
	s_waitcnt vmcnt(0)
	v_mul_f64 v[16:17], v[109:110], v[103:104]
	v_mul_f64 v[6:7], v[111:112], v[103:104]
	s_delay_alu instid0(VALU_DEP_2)
	v_fma_f64 v[16:17], v[111:112], v[101:102], v[16:17]
	ds_load_b128 v[111:114], v246 offset:12288
	v_fma_f64 v[6:7], v[109:110], v[101:102], -v[6:7]
	s_waitcnt lgkmcnt(0)
	v_mul_f64 v[18:19], v[113:114], v[99:100]
	v_add_f64 v[16:17], v[83:84], -v[16:17]
	s_delay_alu instid0(VALU_DEP_3) | instskip(NEXT) | instid1(VALU_DEP_3)
	v_add_f64 v[6:7], v[81:82], -v[6:7]
	v_fma_f64 v[109:110], v[111:112], v[97:98], -v[18:19]
	v_mul_f64 v[18:19], v[111:112], v[99:100]
	s_delay_alu instid0(VALU_DEP_1) | instskip(SKIP_3) | instid1(VALU_DEP_1)
	v_fma_f64 v[111:112], v[113:114], v[97:98], v[18:19]
	ds_load_b128 v[113:116], v246 offset:22528
	s_waitcnt lgkmcnt(0)
	v_mul_f64 v[18:19], v[115:116], v[107:108]
	v_fma_f64 v[125:126], v[113:114], v[105:106], -v[18:19]
	v_mul_f64 v[18:19], v[113:114], v[107:108]
	s_delay_alu instid0(VALU_DEP_1) | instskip(SKIP_3) | instid1(VALU_DEP_1)
	v_fma_f64 v[129:130], v[115:116], v[105:106], v[18:19]
	ds_load_b128 v[113:116], v246 offset:32768
	s_waitcnt lgkmcnt(0)
	v_mul_f64 v[18:19], v[115:116], v[103:104]
	v_fma_f64 v[127:128], v[113:114], v[101:102], -v[18:19]
	v_mul_f64 v[18:19], v[113:114], v[103:104]
	s_delay_alu instid0(VALU_DEP_2) | instskip(NEXT) | instid1(VALU_DEP_2)
	v_add_f64 v[28:29], v[109:110], -v[127:128]
	v_fma_f64 v[141:142], v[115:116], v[101:102], v[18:19]
	ds_load_b128 v[115:118], v246 offset:14336
	s_waitcnt lgkmcnt(0)
	v_mul_f64 v[18:19], v[117:118], v[99:100]
	v_add_f64 v[26:27], v[111:112], -v[141:142]
	s_delay_alu instid0(VALU_DEP_2) | instskip(SKIP_1) | instid1(VALU_DEP_1)
	v_fma_f64 v[113:114], v[115:116], v[97:98], -v[18:19]
	v_mul_f64 v[18:19], v[115:116], v[99:100]
	v_fma_f64 v[115:116], v[117:118], v[97:98], v[18:19]
	ds_load_b128 v[117:120], v246 offset:24576
	s_waitcnt lgkmcnt(0)
	v_mul_f64 v[18:19], v[119:120], v[107:108]
	s_delay_alu instid0(VALU_DEP_1) | instskip(SKIP_1) | instid1(VALU_DEP_1)
	v_fma_f64 v[131:132], v[117:118], v[105:106], -v[18:19]
	v_mul_f64 v[18:19], v[117:118], v[107:108]
	v_fma_f64 v[135:136], v[119:120], v[105:106], v[18:19]
	ds_load_b128 v[117:120], v246 offset:34816
	s_waitcnt lgkmcnt(0)
	v_mul_f64 v[18:19], v[119:120], v[103:104]
	s_delay_alu instid0(VALU_DEP_1) | instskip(SKIP_1) | instid1(VALU_DEP_2)
	v_fma_f64 v[133:134], v[117:118], v[101:102], -v[18:19]
	v_mul_f64 v[18:19], v[117:118], v[103:104]
	v_add_f64 v[36:37], v[113:114], -v[133:134]
	s_delay_alu instid0(VALU_DEP_2) | instskip(SKIP_4) | instid1(VALU_DEP_2)
	v_fma_f64 v[149:150], v[119:120], v[101:102], v[18:19]
	ds_load_b128 v[119:122], v246 offset:16384
	s_waitcnt lgkmcnt(0)
	v_mul_f64 v[18:19], v[121:122], v[99:100]
	v_add_f64 v[34:35], v[115:116], -v[149:150]
	v_fma_f64 v[117:118], v[119:120], v[97:98], -v[18:19]
	v_mul_f64 v[18:19], v[119:120], v[99:100]
	s_delay_alu instid0(VALU_DEP_1) | instskip(SKIP_3) | instid1(VALU_DEP_1)
	v_fma_f64 v[119:120], v[121:122], v[97:98], v[18:19]
	ds_load_b128 v[121:124], v246 offset:26624
	s_waitcnt lgkmcnt(0)
	v_mul_f64 v[18:19], v[123:124], v[107:108]
	v_fma_f64 v[137:138], v[121:122], v[105:106], -v[18:19]
	v_mul_f64 v[18:19], v[121:122], v[107:108]
	s_delay_alu instid0(VALU_DEP_1) | instskip(SKIP_3) | instid1(VALU_DEP_1)
	v_fma_f64 v[143:144], v[123:124], v[105:106], v[18:19]
	ds_load_b128 v[121:124], v246 offset:36864
	s_waitcnt lgkmcnt(0)
	v_mul_f64 v[18:19], v[123:124], v[103:104]
	v_fma_f64 v[139:140], v[121:122], v[101:102], -v[18:19]
	v_mul_f64 v[18:19], v[121:122], v[103:104]
	s_delay_alu instid0(VALU_DEP_2) | instskip(NEXT) | instid1(VALU_DEP_2)
	v_add_f64 v[42:43], v[117:118], -v[139:140]
	v_fma_f64 v[153:154], v[123:124], v[101:102], v[18:19]
	v_mul_f64 v[18:19], v[147:148], v[99:100]
	s_delay_alu instid0(VALU_DEP_2) | instskip(NEXT) | instid1(VALU_DEP_2)
	v_add_f64 v[40:41], v[119:120], -v[153:154]
	v_fma_f64 v[121:122], v[145:146], v[97:98], -v[18:19]
	v_mul_f64 v[18:19], v[145:146], v[99:100]
	s_delay_alu instid0(VALU_DEP_1) | instskip(SKIP_1) | instid1(VALU_DEP_1)
	v_fma_f64 v[123:124], v[147:148], v[97:98], v[18:19]
	v_mul_f64 v[18:19], v[157:158], v[107:108]
	v_fma_f64 v[145:146], v[155:156], v[105:106], -v[18:19]
	v_mul_f64 v[18:19], v[155:156], v[107:108]
	s_delay_alu instid0(VALU_DEP_1) | instskip(SKIP_3) | instid1(VALU_DEP_1)
	v_fma_f64 v[151:152], v[157:158], v[105:106], v[18:19]
	ds_load_b128 v[155:158], v246 offset:38912
	s_waitcnt lgkmcnt(0)
	v_mul_f64 v[18:19], v[157:158], v[103:104]
	v_fma_f64 v[147:148], v[155:156], v[101:102], -v[18:19]
	v_mul_f64 v[18:19], v[155:156], v[103:104]
	s_delay_alu instid0(VALU_DEP_2) | instskip(NEXT) | instid1(VALU_DEP_2)
	v_add_f64 v[54:55], v[121:122], -v[147:148]
	v_fma_f64 v[155:156], v[157:158], v[101:102], v[18:19]
	ds_load_b128 v[157:160], v246
	ds_load_b128 v[165:168], v246 offset:2048
	ds_load_b128 v[169:172], v246 offset:8192
	ds_load_b128 v[173:176], v246 offset:4096
	ds_load_b128 v[177:180], v246 offset:6144
	s_waitcnt lgkmcnt(0)
	s_barrier
	buffer_gl0_inv
	v_add_f64 v[3:4], v[165:166], -v[125:126]
	v_add_f64 v[8:9], v[157:158], -v[8:9]
	;; [unrolled: 1-line block ×4, first 2 shown]
	s_delay_alu instid0(VALU_DEP_4)
	v_add_f64 v[125:126], v[3:4], -v[26:27]
	v_fma_f64 v[22:23], v[165:166], 2.0, -v[3:4]
	v_fma_f64 v[18:19], v[157:158], 2.0, -v[8:9]
	v_add_f64 v[157:158], v[8:9], -v[16:17]
	v_fma_f64 v[20:21], v[159:160], 2.0, -v[10:11]
	v_add_f64 v[159:160], v[10:11], v[6:7]
	s_delay_alu instid0(VALU_DEP_3) | instskip(SKIP_1) | instid1(VALU_DEP_3)
	v_fma_f64 v[161:162], v[8:9], 2.0, -v[157:158]
	v_add_f64 v[8:9], v[167:168], -v[129:130]
	v_fma_f64 v[163:164], v[10:11], 2.0, -v[159:160]
	v_lshlrev_b32_e32 v10, 4, v1
	v_and_or_b32 v1, 0x3c0, v5, v15
	s_delay_alu instid0(VALU_DEP_1)
	v_lshlrev_b32_e32 v11, 4, v1
	v_add_f64 v[0:1], v[177:178], -v[137:138]
	v_add_f64 v[127:128], v[8:9], v[28:29]
	ds_store_b128 v10, v[157:160] offset:768
	v_fma_f64 v[157:158], v[3:4], 2.0, -v[125:126]
	v_add_f64 v[3:4], v[173:174], -v[131:132]
	v_fma_f64 v[24:25], v[167:168], 2.0, -v[8:9]
	ds_store_b128 v11, v[125:128] offset:768
	v_fma_f64 v[159:160], v[8:9], 2.0, -v[127:128]
	v_add_f64 v[8:9], v[175:176], -v[135:136]
	v_add_f64 v[125:126], v[3:4], -v[34:35]
	v_fma_f64 v[30:31], v[173:174], 2.0, -v[3:4]
	s_delay_alu instid0(VALU_DEP_3) | instskip(NEXT) | instid1(VALU_DEP_3)
	v_add_f64 v[127:128], v[8:9], v[36:37]
	v_fma_f64 v[129:130], v[3:4], 2.0, -v[125:126]
	v_add_f64 v[3:4], v[179:180], -v[143:144]
	v_fma_f64 v[32:33], v[175:176], 2.0, -v[8:9]
	ds_store_b128 v51, v[125:128] offset:768
	v_add_f64 v[125:126], v[0:1], -v[40:41]
	v_fma_f64 v[131:132], v[8:9], 2.0, -v[127:128]
	v_add_f64 v[127:128], v[3:4], v[42:43]
	v_fma_f64 v[8:9], v[177:178], 2.0, -v[0:1]
	v_fma_f64 v[38:39], v[179:180], 2.0, -v[3:4]
	;; [unrolled: 1-line block ×3, first 2 shown]
	v_and_or_b32 v0, 0x7c0, v2, v15
	v_fma_f64 v[135:136], v[3:4], 2.0, -v[127:128]
	v_add_f64 v[2:3], v[171:172], -v[151:152]
	s_delay_alu instid0(VALU_DEP_3)
	v_lshlrev_b32_e32 v50, 4, v0
	v_add_f64 v[0:1], v[169:170], -v[145:146]
	ds_store_b128 v50, v[125:128] offset:768
	v_add_f64 v[127:128], v[2:3], v[54:55]
	v_fma_f64 v[46:47], v[171:172], 2.0, -v[2:3]
	v_add_f64 v[125:126], v[0:1], -v[52:53]
	v_fma_f64 v[44:45], v[169:170], 2.0, -v[0:1]
	s_delay_alu instid0(VALU_DEP_4) | instskip(SKIP_1) | instid1(VALU_DEP_4)
	v_fma_f64 v[139:140], v[2:3], 2.0, -v[127:128]
	v_fma_f64 v[2:3], v[83:84], 2.0, -v[16:17]
	;; [unrolled: 1-line block ×3, first 2 shown]
	v_and_or_b32 v0, 0x9c0, v14, v15
	s_delay_alu instid0(VALU_DEP_1) | instskip(SKIP_3) | instid1(VALU_DEP_3)
	v_lshlrev_b32_e32 v5, 4, v0
	v_fma_f64 v[0:1], v[81:82], 2.0, -v[6:7]
	v_add_f64 v[83:84], v[20:21], -v[2:3]
	v_fma_f64 v[2:3], v[111:112], 2.0, -v[26:27]
	v_add_f64 v[81:82], v[18:19], -v[0:1]
	v_fma_f64 v[0:1], v[109:110], 2.0, -v[28:29]
	ds_store_b128 v5, v[125:128] offset:768
	v_fma_f64 v[127:128], v[20:21], 2.0, -v[83:84]
	ds_store_b128 v10, v[81:84] offset:512
	v_fma_f64 v[125:126], v[18:19], 2.0, -v[81:82]
	v_add_f64 v[81:82], v[22:23], -v[0:1]
	v_add_f64 v[83:84], v[24:25], -v[2:3]
	v_fma_f64 v[0:1], v[113:114], 2.0, -v[36:37]
	v_fma_f64 v[2:3], v[115:116], 2.0, -v[34:35]
	s_delay_alu instid0(VALU_DEP_4) | instskip(NEXT) | instid1(VALU_DEP_4)
	v_fma_f64 v[109:110], v[22:23], 2.0, -v[81:82]
	v_fma_f64 v[111:112], v[24:25], 2.0, -v[83:84]
	ds_store_b128 v11, v[81:84] offset:512
	v_add_f64 v[81:82], v[30:31], -v[0:1]
	v_add_f64 v[83:84], v[32:33], -v[2:3]
	v_fma_f64 v[0:1], v[117:118], 2.0, -v[42:43]
	v_fma_f64 v[2:3], v[119:120], 2.0, -v[40:41]
	s_delay_alu instid0(VALU_DEP_4) | instskip(NEXT) | instid1(VALU_DEP_4)
	v_fma_f64 v[113:114], v[30:31], 2.0, -v[81:82]
	v_fma_f64 v[115:116], v[32:33], 2.0, -v[83:84]
	ds_store_b128 v51, v[81:84] offset:512
	;; [unrolled: 8-line block ×3, first 2 shown]
	v_add_f64 v[81:82], v[44:45], -v[0:1]
	v_add_f64 v[83:84], v[46:47], -v[2:3]
	v_and_b32_e32 v2, 63, v255
	s_delay_alu instid0(VALU_DEP_1) | instskip(NEXT) | instid1(VALU_DEP_4)
	v_mad_u64_u32 v[0:1], null, 0x90, v2, s[10:11]
	v_fma_f64 v[121:122], v[44:45], 2.0, -v[81:82]
	s_delay_alu instid0(VALU_DEP_4)
	v_fma_f64 v[123:124], v[46:47], 2.0, -v[83:84]
	ds_store_b128 v5, v[81:84] offset:512
	ds_store_b128 v10, v[161:164] offset:256
	;; [unrolled: 1-line block ×6, first 2 shown]
	ds_store_b128 v10, v[125:128]
	ds_store_b128 v11, v[109:112]
	;; [unrolled: 1-line block ×5, first 2 shown]
	s_waitcnt lgkmcnt(0)
	s_barrier
	buffer_gl0_inv
	s_clause 0x3
	global_load_b128 v[113:116], v[0:1], off offset:960
	global_load_b128 v[137:140], v[0:1], off offset:976
	;; [unrolled: 1-line block ×4, first 2 shown]
	ds_load_b128 v[81:84], v246 offset:4096
	s_clause 0x3
	global_load_b128 v[117:120], v[0:1], off offset:1024
	global_load_b128 v[129:132], v[0:1], off offset:1040
	;; [unrolled: 1-line block ×4, first 2 shown]
	ds_load_b128 v[141:144], v246 offset:36864
	s_waitcnt vmcnt(7) lgkmcnt(1)
	v_mul_f64 v[3:4], v[83:84], v[115:116]
	s_delay_alu instid0(VALU_DEP_1) | instskip(SKIP_1) | instid1(VALU_DEP_1)
	v_fma_f64 v[193:194], v[81:82], v[113:114], -v[3:4]
	v_mul_f64 v[3:4], v[81:82], v[115:116]
	v_fma_f64 v[195:196], v[83:84], v[113:114], v[3:4]
	ds_load_b128 v[81:84], v246 offset:8192
	s_waitcnt vmcnt(6) lgkmcnt(0)
	v_mul_f64 v[3:4], v[83:84], v[139:140]
	s_delay_alu instid0(VALU_DEP_1) | instskip(SKIP_1) | instid1(VALU_DEP_1)
	v_fma_f64 v[197:198], v[81:82], v[137:138], -v[3:4]
	v_mul_f64 v[3:4], v[81:82], v[139:140]
	v_fma_f64 v[199:200], v[83:84], v[137:138], v[3:4]
	ds_load_b128 v[81:84], v246 offset:12288
	s_waitcnt vmcnt(5) lgkmcnt(0)
	v_mul_f64 v[3:4], v[83:84], v[135:136]
	s_delay_alu instid0(VALU_DEP_1) | instskip(SKIP_1) | instid1(VALU_DEP_2)
	v_fma_f64 v[203:204], v[81:82], v[133:134], -v[3:4]
	v_mul_f64 v[3:4], v[81:82], v[135:136]
	v_add_f64 v[6:7], v[193:194], v[203:204]
	s_delay_alu instid0(VALU_DEP_2) | instskip(SKIP_4) | instid1(VALU_DEP_2)
	v_fma_f64 v[201:202], v[83:84], v[133:134], v[3:4]
	ds_load_b128 v[81:84], v246 offset:16384
	s_waitcnt vmcnt(4) lgkmcnt(0)
	v_mul_f64 v[3:4], v[83:84], v[123:124]
	v_add_f64 v[8:9], v[195:196], v[201:202]
	v_fma_f64 v[206:207], v[81:82], v[121:122], -v[3:4]
	v_mul_f64 v[3:4], v[81:82], v[123:124]
	s_delay_alu instid0(VALU_DEP_1) | instskip(SKIP_3) | instid1(VALU_DEP_1)
	v_fma_f64 v[208:209], v[83:84], v[121:122], v[3:4]
	ds_load_b128 v[81:84], v246 offset:20480
	s_waitcnt vmcnt(3) lgkmcnt(0)
	v_mul_f64 v[3:4], v[83:84], v[119:120]
	v_fma_f64 v[212:213], v[81:82], v[117:118], -v[3:4]
	v_mul_f64 v[3:4], v[81:82], v[119:120]
	s_delay_alu instid0(VALU_DEP_2) | instskip(NEXT) | instid1(VALU_DEP_2)
	v_add_f64 v[6:7], v[6:7], v[212:213]
	v_fma_f64 v[210:211], v[83:84], v[117:118], v[3:4]
	ds_load_b128 v[81:84], v246 offset:24576
	v_add_f64 v[43:44], v[212:213], -v[203:204]
	s_waitcnt vmcnt(2) lgkmcnt(0)
	v_mul_f64 v[3:4], v[83:84], v[131:132]
	v_add_f64 v[8:9], v[8:9], v[210:211]
	v_add_f64 v[52:53], v[210:211], -v[201:202]
	s_delay_alu instid0(VALU_DEP_3) | instskip(SKIP_1) | instid1(VALU_DEP_2)
	v_fma_f64 v[214:215], v[81:82], v[129:130], -v[3:4]
	v_mul_f64 v[3:4], v[81:82], v[131:132]
	v_add_f64 v[39:40], v[206:207], -v[214:215]
	s_delay_alu instid0(VALU_DEP_2) | instskip(SKIP_4) | instid1(VALU_DEP_2)
	v_fma_f64 v[216:217], v[83:84], v[129:130], v[3:4]
	ds_load_b128 v[81:84], v246 offset:28672
	s_waitcnt vmcnt(1) lgkmcnt(0)
	v_mul_f64 v[3:4], v[83:84], v[111:112]
	v_add_f64 v[33:34], v[208:209], -v[216:217]
	v_fma_f64 v[220:221], v[81:82], v[109:110], -v[3:4]
	v_mul_f64 v[3:4], v[81:82], v[111:112]
	s_delay_alu instid0(VALU_DEP_2) | instskip(NEXT) | instid1(VALU_DEP_2)
	v_add_f64 v[6:7], v[6:7], v[220:221]
	v_fma_f64 v[218:219], v[83:84], v[109:110], v[3:4]
	ds_load_b128 v[81:84], v246 offset:32768
	v_add_f64 v[21:22], v[212:213], -v[220:221]
	s_waitcnt vmcnt(0) lgkmcnt(0)
	v_mul_f64 v[3:4], v[83:84], v[127:128]
	v_add_f64 v[8:9], v[8:9], v[218:219]
	v_add_f64 v[17:18], v[210:211], v[218:219]
	v_add_f64 v[27:28], v[210:211], -v[218:219]
	s_delay_alu instid0(VALU_DEP_4) | instskip(SKIP_1) | instid1(VALU_DEP_4)
	v_fma_f64 v[222:223], v[81:82], v[125:126], -v[3:4]
	v_mul_f64 v[3:4], v[81:82], v[127:128]
	v_fma_f64 v[17:18], v[17:18], -0.5, v[195:196]
	s_delay_alu instid0(VALU_DEP_3) | instskip(NEXT) | instid1(VALU_DEP_3)
	v_add_f64 v[37:38], v[197:198], -v[222:223]
	v_fma_f64 v[224:225], v[83:84], v[125:126], v[3:4]
	global_load_b128 v[81:84], v[0:1], off offset:1088
	s_waitcnt vmcnt(0)
	v_mul_f64 v[0:1], v[143:144], v[83:84]
	s_delay_alu instid0(VALU_DEP_1) | instskip(SKIP_1) | instid1(VALU_DEP_2)
	v_fma_f64 v[228:229], v[141:142], v[81:82], -v[0:1]
	v_mul_f64 v[0:1], v[141:142], v[83:84]
	v_add_f64 v[6:7], v[6:7], v[228:229]
	s_delay_alu instid0(VALU_DEP_2)
	v_fma_f64 v[226:227], v[143:144], v[81:82], v[0:1]
	ds_load_b128 v[141:144], v246 offset:6144
	v_add_f64 v[13:14], v[228:229], -v[220:221]
	v_add_f64 v[19:20], v[203:204], -v[228:229]
	v_add_f64 v[45:46], v[203:204], v[228:229]
	v_add_f64 v[47:48], v[220:221], -v[228:229]
	s_waitcnt lgkmcnt(0)
	v_mul_f64 v[0:1], v[143:144], v[115:116]
	v_add_f64 v[8:9], v[8:9], v[226:227]
	v_add_f64 v[15:16], v[226:227], -v[218:219]
	v_add_f64 v[25:26], v[201:202], -v[226:227]
	v_fma_f64 v[23:24], v[19:20], s[18:19], v[17:18]
	v_add_f64 v[54:55], v[201:202], v[226:227]
	v_add_f64 v[56:57], v[218:219], -v[226:227]
	v_fma_f64 v[17:18], v[19:20], s[16:17], v[17:18]
	v_fma_f64 v[157:158], v[141:142], v[113:114], -v[0:1]
	v_mul_f64 v[0:1], v[141:142], v[115:116]
	v_fma_f64 v[23:24], v[21:22], s[14:15], v[23:24]
	v_fma_f64 v[54:55], v[54:55], -0.5, v[195:196]
	v_fma_f64 v[17:18], v[21:22], s[8:9], v[17:18]
	s_delay_alu instid0(VALU_DEP_4) | instskip(SKIP_3) | instid1(VALU_DEP_1)
	v_fma_f64 v[159:160], v[143:144], v[113:114], v[0:1]
	ds_load_b128 v[141:144], v246 offset:10240
	s_waitcnt lgkmcnt(0)
	v_mul_f64 v[0:1], v[143:144], v[139:140]
	v_fma_f64 v[163:164], v[141:142], v[137:138], -v[0:1]
	v_mul_f64 v[0:1], v[141:142], v[139:140]
	s_delay_alu instid0(VALU_DEP_1) | instskip(SKIP_3) | instid1(VALU_DEP_1)
	v_fma_f64 v[165:166], v[143:144], v[137:138], v[0:1]
	ds_load_b128 v[141:144], v246 offset:14336
	s_waitcnt lgkmcnt(0)
	v_mul_f64 v[0:1], v[143:144], v[135:136]
	v_fma_f64 v[167:168], v[141:142], v[133:134], -v[0:1]
	v_mul_f64 v[0:1], v[141:142], v[135:136]
	s_delay_alu instid0(VALU_DEP_1) | instskip(SKIP_3) | instid1(VALU_DEP_1)
	;; [unrolled: 7-line block ×7, first 2 shown]
	v_fma_f64 v[189:190], v[143:144], v[125:126], v[0:1]
	ds_load_b128 v[141:144], v246 offset:38912
	s_waitcnt lgkmcnt(0)
	v_mul_f64 v[0:1], v[143:144], v[83:84]
	v_fma_f64 v[191:192], v[141:142], v[81:82], -v[0:1]
	v_mul_f64 v[0:1], v[141:142], v[83:84]
	s_delay_alu instid0(VALU_DEP_1)
	v_fma_f64 v[185:186], v[143:144], v[81:82], v[0:1]
	v_add_f64 v[0:1], v[206:207], v[214:215]
	ds_load_b128 v[141:144], v246
	s_waitcnt lgkmcnt(0)
	v_add_f64 v[3:4], v[143:144], v[199:200]
	v_fma_f64 v[230:231], v[0:1], -0.5, v[141:142]
	v_add_f64 v[0:1], v[197:198], v[222:223]
	s_delay_alu instid0(VALU_DEP_3) | instskip(NEXT) | instid1(VALU_DEP_2)
	v_add_f64 v[3:4], v[3:4], v[208:209]
	v_fma_f64 v[234:235], v[0:1], -0.5, v[141:142]
	v_add_f64 v[0:1], v[208:209], v[216:217]
	s_delay_alu instid0(VALU_DEP_3) | instskip(NEXT) | instid1(VALU_DEP_2)
	v_add_f64 v[3:4], v[3:4], v[216:217]
	v_fma_f64 v[232:233], v[0:1], -0.5, v[143:144]
	v_add_f64 v[0:1], v[199:200], v[224:225]
	s_delay_alu instid0(VALU_DEP_3) | instskip(NEXT) | instid1(VALU_DEP_3)
	v_add_f64 v[3:4], v[3:4], v[224:225]
	v_fma_f64 v[41:42], v[37:38], s[18:19], v[232:233]
	s_delay_alu instid0(VALU_DEP_3)
	v_fma_f64 v[236:237], v[0:1], -0.5, v[143:144]
	v_add_f64 v[0:1], v[141:142], v[197:198]
	ds_load_b128 v[141:144], v246 offset:2048
	s_waitcnt lgkmcnt(0)
	s_barrier
	buffer_gl0_inv
	v_add_f64 v[155:156], v[3:4], v[8:9]
	v_add_f64 v[151:152], v[3:4], -v[8:9]
	v_add_f64 v[8:9], v[159:160], v[161:162]
	v_add_f64 v[3:4], v[143:144], v[165:166]
	v_fma_f64 v[41:42], v[39:40], s[14:15], v[41:42]
	v_add_f64 v[0:1], v[0:1], v[206:207]
	s_delay_alu instid0(VALU_DEP_4) | instskip(NEXT) | instid1(VALU_DEP_4)
	v_add_f64 v[8:9], v[8:9], v[173:174]
	v_add_f64 v[3:4], v[3:4], v[171:172]
	s_delay_alu instid0(VALU_DEP_3) | instskip(NEXT) | instid1(VALU_DEP_3)
	v_add_f64 v[0:1], v[0:1], v[214:215]
	v_add_f64 v[8:9], v[8:9], v[177:178]
	s_delay_alu instid0(VALU_DEP_3) | instskip(NEXT) | instid1(VALU_DEP_3)
	;; [unrolled: 3-line block ×3, first 2 shown]
	v_add_f64 v[8:9], v[8:9], v[185:186]
	v_add_f64 v[3:4], v[3:4], v[189:190]
	s_delay_alu instid0(VALU_DEP_3) | instskip(SKIP_4) | instid1(VALU_DEP_3)
	v_add_f64 v[153:154], v[0:1], v[6:7]
	v_add_f64 v[149:150], v[0:1], -v[6:7]
	v_add_f64 v[0:1], v[169:170], v[179:180]
	v_add_f64 v[6:7], v[157:158], v[167:168]
	v_add_f64 v[147:148], v[3:4], -v[8:9]
	v_fma_f64 v[238:239], v[0:1], -0.5, v[141:142]
	v_add_f64 v[0:1], v[163:164], v[187:188]
	s_delay_alu instid0(VALU_DEP_4) | instskip(NEXT) | instid1(VALU_DEP_2)
	v_add_f64 v[6:7], v[6:7], v[175:176]
	v_fma_f64 v[242:243], v[0:1], -0.5, v[141:142]
	v_add_f64 v[0:1], v[171:172], v[181:182]
	s_delay_alu instid0(VALU_DEP_3) | instskip(NEXT) | instid1(VALU_DEP_2)
	v_add_f64 v[6:7], v[6:7], v[183:184]
	v_fma_f64 v[240:241], v[0:1], -0.5, v[143:144]
	v_add_f64 v[0:1], v[165:166], v[189:190]
	s_delay_alu instid0(VALU_DEP_3) | instskip(NEXT) | instid1(VALU_DEP_2)
	v_add_f64 v[6:7], v[6:7], v[191:192]
	v_fma_f64 v[244:245], v[0:1], -0.5, v[143:144]
	v_add_f64 v[0:1], v[141:142], v[163:164]
	v_add_f64 v[143:144], v[3:4], v[8:9]
	v_add_f64 v[8:9], v[224:225], -v[216:217]
	s_delay_alu instid0(VALU_DEP_3) | instskip(NEXT) | instid1(VALU_DEP_1)
	v_add_f64 v[0:1], v[0:1], v[169:170]
	v_add_f64 v[0:1], v[0:1], v[179:180]
	s_delay_alu instid0(VALU_DEP_1) | instskip(NEXT) | instid1(VALU_DEP_1)
	v_add_f64 v[0:1], v[0:1], v[187:188]
	v_add_f64 v[141:142], v[0:1], v[6:7]
	v_add_f64 v[145:146], v[0:1], -v[6:7]
	v_lshrrev_b32_e32 v0, 6, v255
	v_add_f64 v[6:7], v[222:223], -v[214:215]
	s_delay_alu instid0(VALU_DEP_2) | instskip(NEXT) | instid1(VALU_DEP_1)
	v_mul_u32_u24_e32 v0, 0x280, v0
	v_or_b32_e32 v0, v0, v2
	s_delay_alu instid0(VALU_DEP_1)
	v_lshlrev_b32_e32 v4, 4, v0
	v_add_f64 v[0:1], v[197:198], -v[206:207]
	ds_store_b128 v4, v[153:156]
	ds_store_b128 v4, v[149:152] offset:5120
	v_add_f64 v[0:1], v[0:1], v[6:7]
	v_add_f64 v[6:7], v[199:200], -v[208:209]
	s_delay_alu instid0(VALU_DEP_1) | instskip(SKIP_1) | instid1(VALU_DEP_2)
	v_add_f64 v[6:7], v[6:7], v[8:9]
	v_add_f64 v[8:9], v[203:204], -v[212:213]
	v_fma_f64 v[41:42], v[6:7], s[12:13], v[41:42]
	s_delay_alu instid0(VALU_DEP_2) | instskip(SKIP_1) | instid1(VALU_DEP_1)
	v_add_f64 v[8:9], v[8:9], v[13:14]
	v_add_f64 v[13:14], v[201:202], -v[210:211]
	v_add_f64 v[13:14], v[13:14], v[15:16]
	v_add_f64 v[15:16], v[212:213], v[220:221]
	s_delay_alu instid0(VALU_DEP_2) | instskip(NEXT) | instid1(VALU_DEP_2)
	v_fma_f64 v[23:24], v[13:14], s[12:13], v[23:24]
	v_fma_f64 v[15:16], v[15:16], -0.5, v[193:194]
	v_fma_f64 v[13:14], v[13:14], s[12:13], v[17:18]
	v_add_f64 v[17:18], v[173:174], v[177:178]
	s_delay_alu instid0(VALU_DEP_4) | instskip(NEXT) | instid1(VALU_DEP_4)
	v_mul_f64 v[31:32], v[23:24], s[8:9]
	v_fma_f64 v[29:30], v[25:26], s[16:17], v[15:16]
	v_fma_f64 v[15:16], v[25:26], s[18:19], v[15:16]
	s_delay_alu instid0(VALU_DEP_4) | instskip(NEXT) | instid1(VALU_DEP_3)
	v_fma_f64 v[17:18], v[17:18], -0.5, v[159:160]
	v_fma_f64 v[29:30], v[27:28], s[8:9], v[29:30]
	s_delay_alu instid0(VALU_DEP_3) | instskip(NEXT) | instid1(VALU_DEP_2)
	v_fma_f64 v[15:16], v[27:28], s[14:15], v[15:16]
	v_fma_f64 v[29:30], v[8:9], s[12:13], v[29:30]
	s_delay_alu instid0(VALU_DEP_2) | instskip(NEXT) | instid1(VALU_DEP_2)
	v_fma_f64 v[8:9], v[8:9], s[12:13], v[15:16]
	v_fma_f64 v[31:32], v[29:30], s[20:21], v[31:32]
	v_mul_f64 v[29:30], v[29:30], s[14:15]
	s_delay_alu instid0(VALU_DEP_3) | instskip(NEXT) | instid1(VALU_DEP_2)
	v_mul_f64 v[15:16], v[8:9], s[24:25]
	v_fma_f64 v[23:24], v[23:24], s[20:21], v[29:30]
	v_add_f64 v[29:30], v[199:200], -v[224:225]
	s_delay_alu instid0(VALU_DEP_3) | instskip(SKIP_1) | instid1(VALU_DEP_4)
	v_fma_f64 v[15:16], v[13:14], s[8:9], v[15:16]
	v_mul_f64 v[13:14], v[13:14], s[24:25]
	v_add_f64 v[151:152], v[41:42], v[23:24]
	s_delay_alu instid0(VALU_DEP_4)
	v_fma_f64 v[35:36], v[29:30], s[16:17], v[230:231]
	v_add_f64 v[155:156], v[41:42], -v[23:24]
	v_add_f64 v[23:24], v[206:207], -v[197:198]
	;; [unrolled: 1-line block ×3, first 2 shown]
	v_fma_f64 v[8:9], v[8:9], s[14:15], v[13:14]
	v_add_f64 v[13:14], v[191:192], -v[183:184]
	v_fma_f64 v[35:36], v[33:34], s[8:9], v[35:36]
	s_delay_alu instid0(VALU_DEP_1) | instskip(NEXT) | instid1(VALU_DEP_1)
	v_fma_f64 v[35:36], v[0:1], s[12:13], v[35:36]
	v_add_f64 v[149:150], v[35:36], v[31:32]
	v_add_f64 v[153:154], v[35:36], -v[31:32]
	v_add_f64 v[31:32], v[214:215], -v[222:223]
	;; [unrolled: 1-line block ×3, first 2 shown]
	s_delay_alu instid0(VALU_DEP_2) | instskip(NEXT) | instid1(VALU_DEP_2)
	v_add_f64 v[23:24], v[23:24], v[31:32]
	v_add_f64 v[31:32], v[35:36], v[41:42]
	v_fma_f64 v[35:36], v[45:46], -0.5, v[193:194]
	v_fma_f64 v[45:46], v[21:22], s[16:17], v[54:55]
	v_add_f64 v[41:42], v[43:44], v[47:48]
	v_add_f64 v[43:44], v[52:53], v[56:57]
	v_fma_f64 v[56:57], v[39:40], s[16:17], v[236:237]
	v_fma_f64 v[47:48], v[27:28], s[18:19], v[35:36]
	v_fma_f64 v[45:46], v[19:20], s[14:15], v[45:46]
	v_fma_f64 v[35:36], v[27:28], s[16:17], v[35:36]
	v_add_f64 v[27:28], v[173:174], -v[177:178]
	v_fma_f64 v[56:57], v[37:38], s[14:15], v[56:57]
	v_fma_f64 v[47:48], v[25:26], s[8:9], v[47:48]
	;; [unrolled: 1-line block ×7, first 2 shown]
	v_mul_f64 v[52:53], v[45:46], s[16:17]
	v_fma_f64 v[35:36], v[41:42], s[12:13], v[35:36]
	v_fma_f64 v[41:42], v[21:22], s[18:19], v[54:55]
	v_add_f64 v[21:22], v[175:176], -v[183:184]
	v_add_f64 v[54:55], v[161:162], v[185:186]
	v_fma_f64 v[52:53], v[47:48], s[12:13], v[52:53]
	v_mul_f64 v[47:48], v[47:48], s[18:19]
	v_fma_f64 v[41:42], v[19:20], s[8:9], v[41:42]
	s_delay_alu instid0(VALU_DEP_4) | instskip(NEXT) | instid1(VALU_DEP_3)
	v_fma_f64 v[54:55], v[54:55], -0.5, v[159:160]
	v_fma_f64 v[45:46], v[45:46], s[12:13], v[47:48]
	v_fma_f64 v[47:48], v[33:34], s[18:19], v[234:235]
	s_delay_alu instid0(VALU_DEP_4) | instskip(SKIP_1) | instid1(VALU_DEP_4)
	v_fma_f64 v[41:42], v[43:44], s[12:13], v[41:42]
	v_mul_f64 v[43:44], v[35:36], s[22:23]
	v_add_f64 v[195:196], v[56:57], v[45:46]
	v_add_f64 v[199:200], v[56:57], -v[45:46]
	v_fma_f64 v[45:46], v[33:34], s[16:17], v[234:235]
	v_fma_f64 v[47:48], v[29:30], s[8:9], v[47:48]
	;; [unrolled: 1-line block ×3, first 2 shown]
	v_mul_f64 v[41:42], v[41:42], s[22:23]
	v_add_f64 v[56:57], v[177:178], -v[185:186]
	v_fma_f64 v[45:46], v[29:30], s[14:15], v[45:46]
	v_fma_f64 v[47:48], v[23:24], s[12:13], v[47:48]
	s_delay_alu instid0(VALU_DEP_4) | instskip(NEXT) | instid1(VALU_DEP_3)
	v_fma_f64 v[35:36], v[35:36], s[18:19], v[41:42]
	v_fma_f64 v[23:24], v[23:24], s[12:13], v[45:46]
	;; [unrolled: 1-line block ×3, first 2 shown]
	s_delay_alu instid0(VALU_DEP_4)
	v_add_f64 v[193:194], v[47:48], v[52:53]
	v_add_f64 v[197:198], v[47:48], -v[52:53]
	v_add_f64 v[47:48], v[183:184], -v[191:192]
	;; [unrolled: 1-line block ×3, first 2 shown]
	v_add_f64 v[201:202], v[23:24], v[43:44]
	v_add_f64 v[206:207], v[23:24], -v[43:44]
	v_fma_f64 v[23:24], v[29:30], s[18:19], v[230:231]
	v_fma_f64 v[45:46], v[37:38], s[8:9], v[45:46]
	v_add_f64 v[37:38], v[163:164], -v[187:188]
	v_add_f64 v[43:44], v[175:176], -v[167:168]
	s_delay_alu instid0(VALU_DEP_4)
	v_fma_f64 v[19:20], v[33:34], s[14:15], v[23:24]
	v_fma_f64 v[23:24], v[39:40], s[8:9], v[25:26]
	v_add_f64 v[25:26], v[161:162], -v[185:186]
	v_fma_f64 v[31:32], v[31:32], s[12:13], v[45:46]
	v_add_f64 v[33:34], v[171:172], -v[181:182]
	v_add_f64 v[39:40], v[169:170], -v[179:180]
	v_fma_f64 v[41:42], v[37:38], s[18:19], v[240:241]
	v_add_f64 v[45:46], v[167:168], v[191:192]
	v_fma_f64 v[0:1], v[0:1], s[12:13], v[19:20]
	v_fma_f64 v[6:7], v[6:7], s[12:13], v[23:24]
	v_add_f64 v[19:20], v[167:168], -v[191:192]
	v_add_f64 v[203:204], v[31:32], v[35:36]
	v_add_f64 v[208:209], v[31:32], -v[35:36]
	v_fma_f64 v[41:42], v[39:40], s[14:15], v[41:42]
	v_add_f64 v[210:211], v[0:1], v[15:16]
	v_add_f64 v[212:213], v[6:7], v[8:9]
	v_add_f64 v[214:215], v[0:1], -v[15:16]
	v_add_f64 v[216:217], v[6:7], -v[8:9]
	v_add_f64 v[0:1], v[163:164], -v[169:170]
	v_add_f64 v[6:7], v[187:188], -v[179:180]
	v_add_f64 v[8:9], v[189:190], -v[181:182]
	v_add_f64 v[15:16], v[185:186], -v[177:178]
	v_fma_f64 v[23:24], v[19:20], s[18:19], v[17:18]
	v_fma_f64 v[17:18], v[19:20], s[16:17], v[17:18]
	ds_store_b128 v4, v[149:152] offset:1024
	ds_store_b128 v4, v[193:196] offset:2048
	ds_store_b128 v4, v[201:204] offset:3072
	ds_store_b128 v4, v[210:213] offset:4096
	ds_store_b128 v4, v[153:156] offset:6144
	ds_store_b128 v4, v[197:200] offset:7168
	ds_store_b128 v4, v[206:209] offset:8192
	ds_store_b128 v4, v[214:217] offset:9216
	v_add_f64 v[0:1], v[0:1], v[6:7]
	v_add_f64 v[6:7], v[165:166], -v[171:172]
	v_fma_f64 v[23:24], v[21:22], s[14:15], v[23:24]
	v_fma_f64 v[17:18], v[21:22], s[8:9], v[17:18]
	s_delay_alu instid0(VALU_DEP_3) | instskip(SKIP_1) | instid1(VALU_DEP_2)
	v_add_f64 v[6:7], v[6:7], v[8:9]
	v_add_f64 v[8:9], v[167:168], -v[175:176]
	v_fma_f64 v[41:42], v[6:7], s[12:13], v[41:42]
	s_delay_alu instid0(VALU_DEP_2) | instskip(SKIP_1) | instid1(VALU_DEP_1)
	v_add_f64 v[8:9], v[8:9], v[13:14]
	v_add_f64 v[13:14], v[161:162], -v[173:174]
	v_add_f64 v[13:14], v[13:14], v[15:16]
	v_add_f64 v[15:16], v[175:176], v[183:184]
	s_delay_alu instid0(VALU_DEP_2) | instskip(NEXT) | instid1(VALU_DEP_2)
	v_fma_f64 v[23:24], v[13:14], s[12:13], v[23:24]
	v_fma_f64 v[15:16], v[15:16], -0.5, v[157:158]
	v_fma_f64 v[13:14], v[13:14], s[12:13], v[17:18]
	s_delay_alu instid0(VALU_DEP_3) | instskip(NEXT) | instid1(VALU_DEP_3)
	v_mul_f64 v[31:32], v[23:24], s[8:9]
	v_fma_f64 v[29:30], v[25:26], s[16:17], v[15:16]
	v_fma_f64 v[15:16], v[25:26], s[18:19], v[15:16]
	s_delay_alu instid0(VALU_DEP_2) | instskip(NEXT) | instid1(VALU_DEP_2)
	v_fma_f64 v[29:30], v[27:28], s[8:9], v[29:30]
	v_fma_f64 v[15:16], v[27:28], s[14:15], v[15:16]
	s_delay_alu instid0(VALU_DEP_2) | instskip(NEXT) | instid1(VALU_DEP_2)
	v_fma_f64 v[29:30], v[8:9], s[12:13], v[29:30]
	v_fma_f64 v[8:9], v[8:9], s[12:13], v[15:16]
	s_delay_alu instid0(VALU_DEP_2) | instskip(SKIP_1) | instid1(VALU_DEP_3)
	v_fma_f64 v[31:32], v[29:30], s[20:21], v[31:32]
	v_mul_f64 v[29:30], v[29:30], s[14:15]
	v_mul_f64 v[15:16], v[8:9], s[24:25]
	s_delay_alu instid0(VALU_DEP_2) | instskip(SKIP_1) | instid1(VALU_DEP_3)
	v_fma_f64 v[23:24], v[23:24], s[20:21], v[29:30]
	v_add_f64 v[29:30], v[165:166], -v[189:190]
	v_fma_f64 v[15:16], v[13:14], s[8:9], v[15:16]
	v_mul_f64 v[13:14], v[13:14], s[24:25]
	s_delay_alu instid0(VALU_DEP_4) | instskip(NEXT) | instid1(VALU_DEP_4)
	v_add_f64 v[220:221], v[41:42], v[23:24]
	v_fma_f64 v[35:36], v[29:30], s[16:17], v[238:239]
	v_add_f64 v[224:225], v[41:42], -v[23:24]
	v_add_f64 v[23:24], v[169:170], -v[163:164]
	;; [unrolled: 1-line block ×3, first 2 shown]
	v_fma_f64 v[8:9], v[8:9], s[14:15], v[13:14]
	v_fma_f64 v[35:36], v[33:34], s[8:9], v[35:36]
	s_delay_alu instid0(VALU_DEP_1) | instskip(NEXT) | instid1(VALU_DEP_1)
	v_fma_f64 v[35:36], v[0:1], s[12:13], v[35:36]
	v_add_f64 v[218:219], v[35:36], v[31:32]
	v_add_f64 v[222:223], v[35:36], -v[31:32]
	v_add_f64 v[31:32], v[179:180], -v[187:188]
	;; [unrolled: 1-line block ×3, first 2 shown]
	s_delay_alu instid0(VALU_DEP_2) | instskip(NEXT) | instid1(VALU_DEP_2)
	v_add_f64 v[23:24], v[23:24], v[31:32]
	v_add_f64 v[31:32], v[35:36], v[41:42]
	v_fma_f64 v[35:36], v[45:46], -0.5, v[157:158]
	v_fma_f64 v[45:46], v[21:22], s[16:17], v[54:55]
	v_add_f64 v[41:42], v[43:44], v[47:48]
	v_add_f64 v[43:44], v[52:53], v[56:57]
	v_fma_f64 v[56:57], v[39:40], s[16:17], v[244:245]
	v_fma_f64 v[47:48], v[27:28], s[18:19], v[35:36]
	;; [unrolled: 1-line block ×4, first 2 shown]
	s_delay_alu instid0(VALU_DEP_4) | instskip(NEXT) | instid1(VALU_DEP_4)
	v_fma_f64 v[56:57], v[37:38], s[14:15], v[56:57]
	v_fma_f64 v[47:48], v[25:26], s[8:9], v[47:48]
	s_delay_alu instid0(VALU_DEP_4) | instskip(NEXT) | instid1(VALU_DEP_4)
	v_fma_f64 v[45:46], v[43:44], s[12:13], v[45:46]
	v_fma_f64 v[35:36], v[25:26], s[14:15], v[35:36]
	;; [unrolled: 1-line block ×5, first 2 shown]
	v_mul_f64 v[52:53], v[45:46], s[16:17]
	v_fma_f64 v[35:36], v[41:42], s[12:13], v[35:36]
	v_fma_f64 v[41:42], v[21:22], s[18:19], v[54:55]
	s_delay_alu instid0(VALU_DEP_3) | instskip(SKIP_1) | instid1(VALU_DEP_3)
	v_fma_f64 v[52:53], v[47:48], s[12:13], v[52:53]
	v_mul_f64 v[47:48], v[47:48], s[18:19]
	v_fma_f64 v[41:42], v[19:20], s[8:9], v[41:42]
	s_delay_alu instid0(VALU_DEP_2) | instskip(SKIP_1) | instid1(VALU_DEP_3)
	v_fma_f64 v[45:46], v[45:46], s[12:13], v[47:48]
	v_fma_f64 v[47:48], v[33:34], s[18:19], v[242:243]
	;; [unrolled: 1-line block ×3, first 2 shown]
	v_mul_f64 v[43:44], v[35:36], s[22:23]
	s_delay_alu instid0(VALU_DEP_4)
	v_add_f64 v[159:160], v[56:57], v[45:46]
	v_add_f64 v[163:164], v[56:57], -v[45:46]
	v_fma_f64 v[45:46], v[33:34], s[16:17], v[242:243]
	v_fma_f64 v[47:48], v[29:30], s[8:9], v[47:48]
	;; [unrolled: 1-line block ×3, first 2 shown]
	v_mul_f64 v[41:42], v[41:42], s[22:23]
	s_delay_alu instid0(VALU_DEP_4) | instskip(NEXT) | instid1(VALU_DEP_4)
	v_fma_f64 v[45:46], v[29:30], s[14:15], v[45:46]
	v_fma_f64 v[47:48], v[23:24], s[12:13], v[47:48]
	s_delay_alu instid0(VALU_DEP_3) | instskip(NEXT) | instid1(VALU_DEP_3)
	v_fma_f64 v[35:36], v[35:36], s[18:19], v[41:42]
	v_fma_f64 v[23:24], v[23:24], s[12:13], v[45:46]
	;; [unrolled: 1-line block ×3, first 2 shown]
	s_delay_alu instid0(VALU_DEP_4) | instskip(SKIP_1) | instid1(VALU_DEP_4)
	v_add_f64 v[157:158], v[47:48], v[52:53]
	v_add_f64 v[161:162], v[47:48], -v[52:53]
	v_add_f64 v[165:166], v[23:24], v[43:44]
	v_add_f64 v[169:170], v[23:24], -v[43:44]
	v_fma_f64 v[23:24], v[29:30], s[18:19], v[238:239]
	v_fma_f64 v[45:46], v[37:38], s[8:9], v[45:46]
	s_delay_alu instid0(VALU_DEP_2) | instskip(SKIP_1) | instid1(VALU_DEP_3)
	v_fma_f64 v[19:20], v[33:34], s[14:15], v[23:24]
	v_fma_f64 v[23:24], v[39:40], s[8:9], v[25:26]
	;; [unrolled: 1-line block ×3, first 2 shown]
	s_delay_alu instid0(VALU_DEP_3) | instskip(NEXT) | instid1(VALU_DEP_3)
	v_fma_f64 v[0:1], v[0:1], s[12:13], v[19:20]
	v_fma_f64 v[6:7], v[6:7], s[12:13], v[23:24]
	s_delay_alu instid0(VALU_DEP_3) | instskip(SKIP_1) | instid1(VALU_DEP_4)
	v_add_f64 v[167:168], v[31:32], v[35:36]
	v_add_f64 v[171:172], v[31:32], -v[35:36]
	v_add_f64 v[173:174], v[0:1], v[15:16]
	s_delay_alu instid0(VALU_DEP_4) | instskip(SKIP_3) | instid1(VALU_DEP_2)
	v_add_f64 v[175:176], v[6:7], v[8:9]
	v_add_f64 v[177:178], v[0:1], -v[15:16]
	v_lshrrev_b32_e32 v0, 6, v12
	v_add_f64 v[179:180], v[6:7], -v[8:9]
	v_mul_u32_u24_e32 v0, 0x280, v0
	s_delay_alu instid0(VALU_DEP_1) | instskip(NEXT) | instid1(VALU_DEP_1)
	v_or_b32_e32 v0, v0, v2
	v_lshlrev_b32_e32 v12, 4, v0
	v_mad_u64_u32 v[0:1], null, v255, 48, s[10:11]
	ds_store_b128 v12, v[141:144]
	ds_store_b128 v12, v[218:221] offset:1024
	ds_store_b128 v12, v[157:160] offset:2048
	;; [unrolled: 1-line block ×9, first 2 shown]
	v_add_co_u32 v2, vcc_lo, 0x2000, v0
	v_add_co_ci_u32_e32 v3, vcc_lo, 0, v1, vcc_lo
	s_waitcnt lgkmcnt(0)
	s_barrier
	buffer_gl0_inv
	global_load_b128 v[141:144], v[2:3], off offset:1984
	ds_load_b128 v[145:148], v246 offset:10240
	ds_load_b128 v[157:160], v246 offset:12288
	;; [unrolled: 1-line block ×13, first 2 shown]
	s_waitcnt vmcnt(0) lgkmcnt(12)
	v_mul_f64 v[2:3], v[147:148], v[143:144]
	s_delay_alu instid0(VALU_DEP_1) | instskip(SKIP_1) | instid1(VALU_DEP_1)
	v_fma_f64 v[201:202], v[145:146], v[141:142], -v[2:3]
	v_mul_f64 v[2:3], v[145:146], v[143:144]
	v_fma_f64 v[203:204], v[147:148], v[141:142], v[2:3]
	v_add_co_u32 v2, vcc_lo, 0x27c0, v0
	v_add_co_ci_u32_e32 v3, vcc_lo, 0, v1, vcc_lo
	ds_load_b128 v[145:148], v246 offset:20480
	global_load_b128 v[149:152], v[2:3], off offset:16
	s_waitcnt vmcnt(0) lgkmcnt(0)
	v_mul_f64 v[6:7], v[147:148], v[151:152]
	s_delay_alu instid0(VALU_DEP_1) | instskip(SKIP_1) | instid1(VALU_DEP_1)
	v_fma_f64 v[210:211], v[145:146], v[149:150], -v[6:7]
	v_mul_f64 v[6:7], v[145:146], v[151:152]
	v_fma_f64 v[214:215], v[147:148], v[149:150], v[6:7]
	global_load_b128 v[145:148], v[2:3], off offset:32
	s_waitcnt vmcnt(0)
	v_mul_f64 v[2:3], v[155:156], v[147:148]
	s_delay_alu instid0(VALU_DEP_1) | instskip(SKIP_1) | instid1(VALU_DEP_1)
	v_fma_f64 v[212:213], v[153:154], v[145:146], -v[2:3]
	v_mul_f64 v[2:3], v[153:154], v[147:148]
	v_fma_f64 v[216:217], v[155:156], v[145:146], v[2:3]
	v_add_co_u32 v2, vcc_lo, 0x3000, v0
	v_add_co_ci_u32_e32 v3, vcc_lo, 0, v1, vcc_lo
	global_load_b128 v[153:156], v[2:3], off offset:4032
	s_waitcnt vmcnt(0)
	v_mul_f64 v[2:3], v[159:160], v[155:156]
	s_delay_alu instid0(VALU_DEP_1) | instskip(SKIP_1) | instid1(VALU_DEP_1)
	v_fma_f64 v[206:207], v[157:158], v[153:154], -v[2:3]
	v_mul_f64 v[2:3], v[157:158], v[155:156]
	v_fma_f64 v[208:209], v[159:160], v[153:154], v[2:3]
	v_add_co_u32 v2, vcc_lo, 0x3fc0, v0
	v_add_co_ci_u32_e32 v3, vcc_lo, 0, v1, vcc_lo
	v_add_co_u32 v15, vcc_lo, 0x5000, v0
	v_add_co_ci_u32_e32 v16, vcc_lo, 0, v1, vcc_lo
	global_load_b128 v[157:160], v[2:3], off offset:16
	v_add_co_u32 v19, vcc_lo, 0x57c0, v0
	v_add_co_ci_u32_e32 v20, vcc_lo, 0, v1, vcc_lo
	v_add_co_u32 v27, vcc_lo, 0x6000, v0
	v_add_co_ci_u32_e32 v28, vcc_lo, 0, v1, vcc_lo
	;; [unrolled: 2-line block ×5, first 2 shown]
	global_load_b128 v[197:200], v[0:1], off offset:16
	s_waitcnt vmcnt(1)
	v_mul_f64 v[6:7], v[163:164], v[159:160]
	v_mul_f64 v[8:9], v[161:162], v[159:160]
	s_delay_alu instid0(VALU_DEP_2) | instskip(NEXT) | instid1(VALU_DEP_2)
	v_fma_f64 v[6:7], v[161:162], v[157:158], -v[6:7]
	v_fma_f64 v[8:9], v[163:164], v[157:158], v[8:9]
	global_load_b128 v[161:164], v[2:3], off offset:32
	s_waitcnt vmcnt(0)
	v_mul_f64 v[2:3], v[167:168], v[163:164]
	v_mul_f64 v[13:14], v[165:166], v[163:164]
	s_delay_alu instid0(VALU_DEP_2) | instskip(NEXT) | instid1(VALU_DEP_2)
	v_fma_f64 v[2:3], v[165:166], v[161:162], -v[2:3]
	v_fma_f64 v[13:14], v[167:168], v[161:162], v[13:14]
	global_load_b128 v[165:168], v[15:16], off offset:1984
	v_add_f64 v[2:3], v[206:207], -v[2:3]
	v_add_f64 v[13:14], v[208:209], -v[13:14]
	s_waitcnt vmcnt(0)
	v_mul_f64 v[15:16], v[171:172], v[167:168]
	v_mul_f64 v[17:18], v[169:170], v[167:168]
	s_delay_alu instid0(VALU_DEP_2) | instskip(NEXT) | instid1(VALU_DEP_2)
	v_fma_f64 v[15:16], v[169:170], v[165:166], -v[15:16]
	v_fma_f64 v[17:18], v[171:172], v[165:166], v[17:18]
	global_load_b128 v[169:172], v[19:20], off offset:16
	s_waitcnt vmcnt(0)
	v_mul_f64 v[21:22], v[175:176], v[171:172]
	v_mul_f64 v[23:24], v[173:174], v[171:172]
	s_delay_alu instid0(VALU_DEP_2) | instskip(NEXT) | instid1(VALU_DEP_2)
	v_fma_f64 v[21:22], v[173:174], v[169:170], -v[21:22]
	v_fma_f64 v[23:24], v[175:176], v[169:170], v[23:24]
	global_load_b128 v[173:176], v[19:20], off offset:32
	s_waitcnt vmcnt(0)
	v_mul_f64 v[19:20], v[179:180], v[175:176]
	v_mul_f64 v[25:26], v[177:178], v[175:176]
	s_delay_alu instid0(VALU_DEP_2) | instskip(NEXT) | instid1(VALU_DEP_2)
	v_fma_f64 v[19:20], v[177:178], v[173:174], -v[19:20]
	v_fma_f64 v[25:26], v[179:180], v[173:174], v[25:26]
	global_load_b128 v[177:180], v[27:28], off offset:4032
	v_add_f64 v[19:20], v[15:16], -v[19:20]
	v_add_f64 v[25:26], v[17:18], -v[25:26]
	s_waitcnt vmcnt(0)
	v_mul_f64 v[27:28], v[183:184], v[179:180]
	v_mul_f64 v[29:30], v[181:182], v[179:180]
	s_delay_alu instid0(VALU_DEP_2) | instskip(NEXT) | instid1(VALU_DEP_2)
	v_fma_f64 v[27:28], v[181:182], v[177:178], -v[27:28]
	v_fma_f64 v[29:30], v[183:184], v[177:178], v[29:30]
	;; [unrolled: 23-line block ×3, first 2 shown]
	ds_load_b128 v[193:196], v246 offset:28672
	s_waitcnt lgkmcnt(0)
	v_mul_f64 v[43:44], v[195:196], v[199:200]
	v_mul_f64 v[45:46], v[193:194], v[199:200]
	s_delay_alu instid0(VALU_DEP_2) | instskip(NEXT) | instid1(VALU_DEP_2)
	v_fma_f64 v[43:44], v[193:194], v[197:198], -v[43:44]
	v_fma_f64 v[45:46], v[195:196], v[197:198], v[45:46]
	global_load_b128 v[193:196], v[0:1], off offset:32
	s_waitcnt vmcnt(0)
	v_mul_f64 v[0:1], v[220:221], v[195:196]
	v_mul_f64 v[47:48], v[218:219], v[195:196]
	s_delay_alu instid0(VALU_DEP_2) | instskip(NEXT) | instid1(VALU_DEP_2)
	v_fma_f64 v[0:1], v[218:219], v[193:194], -v[0:1]
	v_fma_f64 v[47:48], v[220:221], v[193:194], v[47:48]
	ds_load_b128 v[218:221], v246 offset:2048
	s_waitcnt lgkmcnt(0)
	v_add_f64 v[6:7], v[218:219], -v[6:7]
	v_add_f64 v[8:9], v[220:221], -v[8:9]
	;; [unrolled: 1-line block ×4, first 2 shown]
	s_delay_alu instid0(VALU_DEP_4) | instskip(NEXT) | instid1(VALU_DEP_4)
	v_fma_f64 v[52:53], v[218:219], 2.0, -v[6:7]
	v_fma_f64 v[54:55], v[220:221], 2.0, -v[8:9]
	v_add_f64 v[218:219], v[6:7], -v[13:14]
	v_add_f64 v[220:221], v[8:9], v[2:3]
	v_fma_f64 v[2:3], v[206:207], 2.0, -v[2:3]
	s_delay_alu instid0(VALU_DEP_3) | instskip(NEXT) | instid1(VALU_DEP_3)
	v_fma_f64 v[222:223], v[6:7], 2.0, -v[218:219]
	v_fma_f64 v[224:225], v[8:9], 2.0, -v[220:221]
	ds_store_b128 v246, v[218:221] offset:32768
	ds_load_b128 v[218:221], v246 offset:4096
	s_waitcnt lgkmcnt(0)
	v_add_f64 v[6:7], v[218:219], -v[21:22]
	v_add_f64 v[8:9], v[220:221], -v[23:24]
	s_delay_alu instid0(VALU_DEP_2) | instskip(NEXT) | instid1(VALU_DEP_2)
	v_fma_f64 v[21:22], v[218:219], 2.0, -v[6:7]
	v_fma_f64 v[23:24], v[220:221], 2.0, -v[8:9]
	v_add_f64 v[218:219], v[6:7], -v[25:26]
	v_add_f64 v[220:221], v[8:9], v[19:20]
	s_delay_alu instid0(VALU_DEP_2) | instskip(NEXT) | instid1(VALU_DEP_2)
	v_fma_f64 v[226:227], v[6:7], 2.0, -v[218:219]
	v_fma_f64 v[228:229], v[8:9], 2.0, -v[220:221]
	ds_store_b128 v246, v[218:221] offset:34816
	ds_load_b128 v[218:221], v246 offset:6144
	s_waitcnt lgkmcnt(0)
	v_add_f64 v[6:7], v[218:219], -v[33:34]
	v_add_f64 v[8:9], v[220:221], -v[35:36]
	s_delay_alu instid0(VALU_DEP_2) | instskip(NEXT) | instid1(VALU_DEP_2)
	v_fma_f64 v[33:34], v[218:219], 2.0, -v[6:7]
	v_fma_f64 v[35:36], v[220:221], 2.0, -v[8:9]
	v_add_f64 v[218:219], v[6:7], -v[37:38]
	v_add_f64 v[220:221], v[8:9], v[31:32]
	s_delay_alu instid0(VALU_DEP_2) | instskip(NEXT) | instid1(VALU_DEP_2)
	v_fma_f64 v[230:231], v[6:7], 2.0, -v[218:219]
	v_fma_f64 v[232:233], v[8:9], 2.0, -v[220:221]
	ds_store_b128 v246, v[218:221] offset:36864
	ds_load_b128 v[218:221], v246 offset:8192
	s_waitcnt lgkmcnt(0)
	v_add_f64 v[6:7], v[218:219], -v[43:44]
	v_add_f64 v[8:9], v[220:221], -v[45:46]
	s_delay_alu instid0(VALU_DEP_2) | instskip(NEXT) | instid1(VALU_DEP_2)
	v_fma_f64 v[43:44], v[218:219], 2.0, -v[6:7]
	v_fma_f64 v[45:46], v[220:221], 2.0, -v[8:9]
	v_add_f64 v[218:219], v[6:7], -v[47:48]
	v_add_f64 v[220:221], v[8:9], v[0:1]
	v_fma_f64 v[0:1], v[39:40], 2.0, -v[0:1]
	s_delay_alu instid0(VALU_DEP_3) | instskip(NEXT) | instid1(VALU_DEP_3)
	v_fma_f64 v[234:235], v[6:7], 2.0, -v[218:219]
	v_fma_f64 v[236:237], v[8:9], 2.0, -v[220:221]
	ds_store_b128 v246, v[218:221] offset:38912
	ds_load_b128 v[218:221], v246
	s_waitcnt lgkmcnt(0)
	v_add_f64 v[6:7], v[218:219], -v[210:211]
	v_add_f64 v[8:9], v[220:221], -v[214:215]
	s_delay_alu instid0(VALU_DEP_2) | instskip(NEXT) | instid1(VALU_DEP_2)
	v_fma_f64 v[56:57], v[218:219], 2.0, -v[6:7]
	v_fma_f64 v[58:59], v[220:221], 2.0, -v[8:9]
	v_add_f64 v[218:219], v[203:204], -v[216:217]
	v_add_f64 v[220:221], v[201:202], -v[212:213]
	s_delay_alu instid0(VALU_DEP_2) | instskip(NEXT) | instid1(VALU_DEP_2)
	v_add_f64 v[210:211], v[6:7], -v[218:219]
	v_add_f64 v[212:213], v[8:9], v[220:221]
	s_delay_alu instid0(VALU_DEP_2) | instskip(NEXT) | instid1(VALU_DEP_2)
	v_fma_f64 v[214:215], v[6:7], 2.0, -v[210:211]
	v_fma_f64 v[216:217], v[8:9], 2.0, -v[212:213]
	;; [unrolled: 1-line block ×4, first 2 shown]
	s_delay_alu instid0(VALU_DEP_2) | instskip(NEXT) | instid1(VALU_DEP_2)
	v_add_f64 v[201:202], v[56:57], -v[6:7]
	v_add_f64 v[203:204], v[58:59], -v[8:9]
	v_fma_f64 v[6:7], v[208:209], 2.0, -v[13:14]
	ds_store_b128 v246, v[210:213] offset:30720
	v_fma_f64 v[210:211], v[56:57], 2.0, -v[201:202]
	ds_store_b128 v246, v[201:204] offset:20480
	v_fma_f64 v[212:213], v[58:59], 2.0, -v[203:204]
	v_add_f64 v[201:202], v[52:53], -v[2:3]
	v_add_f64 v[203:204], v[54:55], -v[6:7]
	v_fma_f64 v[2:3], v[15:16], 2.0, -v[19:20]
	v_fma_f64 v[6:7], v[17:18], 2.0, -v[25:26]
	ds_store_b128 v246, v[201:204] offset:22528
	ds_store_b128 v246, v[222:225] offset:12288
	ds_store_b128 v246, v[226:229] offset:14336
	v_fma_f64 v[206:207], v[52:53], 2.0, -v[201:202]
	v_fma_f64 v[208:209], v[54:55], 2.0, -v[203:204]
	v_add_f64 v[201:202], v[21:22], -v[2:3]
	v_add_f64 v[203:204], v[23:24], -v[6:7]
	v_fma_f64 v[2:3], v[27:28], 2.0, -v[31:32]
	v_fma_f64 v[6:7], v[29:30], 2.0, -v[37:38]
	s_delay_alu instid0(VALU_DEP_4) | instskip(NEXT) | instid1(VALU_DEP_4)
	v_fma_f64 v[218:219], v[21:22], 2.0, -v[201:202]
	v_fma_f64 v[220:221], v[23:24], 2.0, -v[203:204]
	ds_store_b128 v246, v[201:204] offset:24576
	v_add_f64 v[201:202], v[33:34], -v[2:3]
	v_add_f64 v[203:204], v[35:36], -v[6:7]
	v_fma_f64 v[2:3], v[41:42], 2.0, -v[47:48]
	ds_store_b128 v246, v[201:204] offset:26624
	ds_store_b128 v246, v[230:233] offset:16384
	;; [unrolled: 1-line block ×3, first 2 shown]
	v_fma_f64 v[222:223], v[33:34], 2.0, -v[201:202]
	v_fma_f64 v[224:225], v[35:36], 2.0, -v[203:204]
	v_add_f64 v[201:202], v[43:44], -v[0:1]
	v_add_f64 v[203:204], v[45:46], -v[2:3]
	s_delay_alu instid0(VALU_DEP_2) | instskip(NEXT) | instid1(VALU_DEP_2)
	v_fma_f64 v[226:227], v[43:44], 2.0, -v[201:202]
	v_fma_f64 v[228:229], v[45:46], 2.0, -v[203:204]
	ds_store_b128 v246, v[201:204] offset:28672
	ds_store_b128 v246, v[214:217] offset:10240
	ds_store_b128 v246, v[210:213]
	ds_store_b128 v246, v[206:209] offset:2048
	ds_store_b128 v246, v[218:221] offset:4096
	;; [unrolled: 1-line block ×4, first 2 shown]
	s_waitcnt lgkmcnt(0)
	s_barrier
	buffer_gl0_inv
	global_load_b128 v[206:209], v246, s[2:3]
	ds_load_b128 v[201:204], v246
	ds_load_b128 v[45:48], v246 offset:36864
	ds_load_b128 v[210:213], v246 offset:10240
	;; [unrolled: 1-line block ×15, first 2 shown]
	s_waitcnt vmcnt(0) lgkmcnt(15)
	v_mul_f64 v[0:1], v[203:204], v[208:209]
	v_mul_f64 v[2:3], v[201:202], v[208:209]
	s_delay_alu instid0(VALU_DEP_2) | instskip(SKIP_1) | instid1(VALU_DEP_3)
	v_fma_f64 v[201:202], v[201:202], v[206:207], -v[0:1]
	v_or_b32_e32 v0, 0x2800, v246
	v_fma_f64 v[203:204], v[203:204], v[206:207], v[2:3]
	global_load_b128 v[206:209], v0, s[2:3]
	s_waitcnt vmcnt(0) lgkmcnt(13)
	v_mul_f64 v[0:1], v[212:213], v[208:209]
	v_mul_f64 v[2:3], v[210:211], v[208:209]
	s_delay_alu instid0(VALU_DEP_2) | instskip(SKIP_1) | instid1(VALU_DEP_3)
	v_fma_f64 v[208:209], v[210:211], v[206:207], -v[0:1]
	v_or_b32_e32 v0, 0x5000, v246
	v_fma_f64 v[210:211], v[212:213], v[206:207], v[2:3]
	global_load_b128 v[212:215], v0, s[2:3]
	;; [unrolled: 8-line block ×3, first 2 shown]
	s_waitcnt vmcnt(0) lgkmcnt(9)
	v_mul_f64 v[0:1], v[224:225], v[220:221]
	v_mul_f64 v[2:3], v[222:223], v[220:221]
	s_delay_alu instid0(VALU_DEP_2) | instskip(NEXT) | instid1(VALU_DEP_2)
	v_fma_f64 v[220:221], v[222:223], v[218:219], -v[0:1]
	v_fma_f64 v[222:223], v[224:225], v[218:219], v[2:3]
	global_load_b128 v[224:227], v246, s[2:3] offset:2048
	s_waitcnt vmcnt(0) lgkmcnt(7)
	v_mul_f64 v[0:1], v[230:231], v[226:227]
	v_mul_f64 v[2:3], v[228:229], v[226:227]
	s_delay_alu instid0(VALU_DEP_2) | instskip(SKIP_1) | instid1(VALU_DEP_3)
	v_fma_f64 v[226:227], v[228:229], v[224:225], -v[0:1]
	v_or_b32_e32 v0, 0x3000, v246
	v_fma_f64 v[228:229], v[230:231], v[224:225], v[2:3]
	global_load_b128 v[230:233], v0, s[2:3]
	s_waitcnt vmcnt(0) lgkmcnt(5)
	v_mul_f64 v[0:1], v[236:237], v[232:233]
	v_mul_f64 v[2:3], v[234:235], v[232:233]
	s_delay_alu instid0(VALU_DEP_2) | instskip(SKIP_1) | instid1(VALU_DEP_3)
	v_fma_f64 v[232:233], v[234:235], v[230:231], -v[0:1]
	v_or_b32_e32 v0, 0x5800, v246
	v_fma_f64 v[234:235], v[236:237], v[230:231], v[2:3]
	global_load_b128 v[236:239], v0, s[2:3]
	;; [unrolled: 8-line block ×3, first 2 shown]
	s_waitcnt vmcnt(0) lgkmcnt(1)
	v_mul_f64 v[0:1], v[15:16], v[244:245]
	v_mul_f64 v[2:3], v[13:14], v[244:245]
	s_delay_alu instid0(VALU_DEP_2)
	v_fma_f64 v[13:14], v[13:14], v[242:243], -v[0:1]
	scratch_load_b32 v0, off, off offset:236 ; 4-byte Folded Reload
	v_fma_f64 v[15:16], v[15:16], v[242:243], v[2:3]
	s_waitcnt vmcnt(0)
	global_load_b128 v[242:245], v0, s[2:3]
	s_waitcnt vmcnt(0)
	v_mul_f64 v[0:1], v[19:20], v[244:245]
	v_mul_f64 v[2:3], v[17:18], v[244:245]
	s_delay_alu instid0(VALU_DEP_2) | instskip(SKIP_1) | instid1(VALU_DEP_3)
	v_fma_f64 v[17:18], v[17:18], v[242:243], -v[0:1]
	v_or_b32_e32 v0, 0x3800, v246
	v_fma_f64 v[19:20], v[19:20], v[242:243], v[2:3]
	global_load_b128 v[242:245], v0, s[2:3]
	s_waitcnt vmcnt(0)
	v_mul_f64 v[0:1], v[23:24], v[244:245]
	v_mul_f64 v[2:3], v[21:22], v[244:245]
	s_delay_alu instid0(VALU_DEP_2) | instskip(SKIP_1) | instid1(VALU_DEP_3)
	v_fma_f64 v[21:22], v[21:22], v[242:243], -v[0:1]
	v_or_b32_e32 v0, 0x6000, v246
	v_fma_f64 v[23:24], v[23:24], v[242:243], v[2:3]
	;; [unrolled: 8-line block ×3, first 2 shown]
	global_load_b128 v[242:245], v0, s[2:3]
	s_waitcnt vmcnt(0) lgkmcnt(0)
	v_mul_f64 v[0:1], v[31:32], v[244:245]
	v_mul_f64 v[2:3], v[29:30], v[244:245]
	s_delay_alu instid0(VALU_DEP_2)
	v_fma_f64 v[29:30], v[29:30], v[242:243], -v[0:1]
	scratch_load_b32 v0, off, off offset:240 ; 4-byte Folded Reload
	v_fma_f64 v[31:32], v[31:32], v[242:243], v[2:3]
	s_waitcnt vmcnt(0)
	global_load_b128 v[242:245], v0, s[2:3]
	s_waitcnt vmcnt(0)
	v_mul_f64 v[0:1], v[35:36], v[244:245]
	v_mul_f64 v[2:3], v[33:34], v[244:245]
	s_delay_alu instid0(VALU_DEP_2) | instskip(SKIP_1) | instid1(VALU_DEP_3)
	v_fma_f64 v[33:34], v[33:34], v[242:243], -v[0:1]
	v_or_b32_e32 v0, 0x4000, v246
	v_fma_f64 v[35:36], v[35:36], v[242:243], v[2:3]
	global_load_b128 v[242:245], v0, s[2:3]
	s_waitcnt vmcnt(0)
	v_mul_f64 v[0:1], v[39:40], v[244:245]
	v_mul_f64 v[2:3], v[37:38], v[244:245]
	s_delay_alu instid0(VALU_DEP_2) | instskip(SKIP_1) | instid1(VALU_DEP_3)
	v_fma_f64 v[37:38], v[37:38], v[242:243], -v[0:1]
	v_or_b32_e32 v0, 0x6800, v246
	v_fma_f64 v[39:40], v[39:40], v[242:243], v[2:3]
	;; [unrolled: 8-line block ×3, first 2 shown]
	global_load_b128 v[242:245], v0, s[2:3]
	s_waitcnt vmcnt(0)
	v_mul_f64 v[0:1], v[47:48], v[244:245]
	v_mul_f64 v[2:3], v[45:46], v[244:245]
	s_delay_alu instid0(VALU_DEP_2)
	v_fma_f64 v[45:46], v[45:46], v[242:243], -v[0:1]
	scratch_load_b32 v0, off, off offset:232 ; 4-byte Folded Reload
	v_fma_f64 v[47:48], v[47:48], v[242:243], v[2:3]
	s_waitcnt vmcnt(0)
	global_load_b128 v[242:245], v0, s[2:3]
	ds_load_b128 v[0:3], v246 offset:8192
	s_waitcnt vmcnt(0) lgkmcnt(0)
	v_mul_f64 v[6:7], v[2:3], v[244:245]
	v_mul_f64 v[8:9], v[0:1], v[244:245]
	s_delay_alu instid0(VALU_DEP_2) | instskip(SKIP_1) | instid1(VALU_DEP_3)
	v_fma_f64 v[0:1], v[0:1], v[242:243], -v[6:7]
	v_or_b32_e32 v6, 0x4800, v246
	v_fma_f64 v[2:3], v[2:3], v[242:243], v[8:9]
	global_load_b128 v[242:245], v6, s[2:3]
	ds_load_b128 v[6:9], v246 offset:18432
	s_waitcnt vmcnt(0) lgkmcnt(0)
	v_mul_f64 v[52:53], v[8:9], v[244:245]
	v_mul_f64 v[54:55], v[6:7], v[244:245]
	s_delay_alu instid0(VALU_DEP_2) | instskip(SKIP_1) | instid1(VALU_DEP_3)
	v_fma_f64 v[6:7], v[6:7], v[242:243], -v[52:53]
	v_or_b32_e32 v52, 0x7000, v246
	v_fma_f64 v[8:9], v[8:9], v[242:243], v[54:55]
	;; [unrolled: 9-line block ×3, first 2 shown]
	global_load_b128 v[242:245], v56, s[2:3]
	ds_load_b128 v[56:59], v246 offset:38912
	s_mul_i32 s2, s5, 0x2800
	s_mul_hi_u32 s3, s4, 0x2800
	s_delay_alu instid0(SALU_CYCLE_1) | instskip(SKIP_1) | instid1(SALU_CYCLE_1)
	s_add_i32 s3, s3, s2
	s_mul_hi_u32 s2, s4, 0xffff9000
	s_sub_i32 s2, s2, s4
	s_waitcnt vmcnt(0) lgkmcnt(0)
	v_mul_f64 v[206:207], v[58:59], v[244:245]
	v_mul_f64 v[212:213], v[56:57], v[244:245]
	s_delay_alu instid0(VALU_DEP_2) | instskip(NEXT) | instid1(VALU_DEP_2)
	v_fma_f64 v[56:57], v[56:57], v[242:243], -v[206:207]
	v_fma_f64 v[58:59], v[58:59], v[242:243], v[212:213]
	ds_store_b128 v246, v[201:204]
	ds_store_b128 v246, v[226:229] offset:2048
	ds_store_b128 v246, v[214:217] offset:20480
	;; [unrolled: 1-line block ×19, first 2 shown]
	s_waitcnt lgkmcnt(0)
	s_barrier
	buffer_gl0_inv
	ds_load_b128 v[0:3], v246 offset:32768
	ds_load_b128 v[6:9], v246 offset:12288
	s_waitcnt lgkmcnt(0)
	v_add_f64 v[17:18], v[8:9], -v[2:3]
	v_add_f64 v[19:20], v[6:7], -v[0:1]
	ds_load_b128 v[0:3], v246 offset:2048
	ds_load_b128 v[13:16], v246 offset:22528
	s_waitcnt lgkmcnt(0)
	v_add_f64 v[13:14], v[0:1], -v[13:14]
	v_add_f64 v[15:16], v[2:3], -v[15:16]
	v_fma_f64 v[224:225], v[8:9], 2.0, -v[17:18]
	v_fma_f64 v[222:223], v[6:7], 2.0, -v[19:20]
	s_delay_alu instid0(VALU_DEP_4) | instskip(NEXT) | instid1(VALU_DEP_4)
	v_add_f64 v[6:7], v[13:14], v[17:18]
	v_add_f64 v[8:9], v[15:16], -v[19:20]
	v_fma_f64 v[226:227], v[0:1], 2.0, -v[13:14]
	v_fma_f64 v[228:229], v[2:3], 2.0, -v[15:16]
	s_delay_alu instid0(VALU_DEP_4) | instskip(NEXT) | instid1(VALU_DEP_4)
	v_fma_f64 v[0:1], v[13:14], 2.0, -v[6:7]
	v_fma_f64 v[2:3], v[15:16], 2.0, -v[8:9]
	ds_load_b128 v[13:16], v246 offset:14336
	ds_load_b128 v[17:20], v246 offset:34816
	;; [unrolled: 1-line block ×4, first 2 shown]
	ds_load_b128 v[29:32], v246
	ds_load_b128 v[33:36], v246 offset:20480
	ds_load_b128 v[37:40], v246 offset:6144
	;; [unrolled: 1-line block ×11, first 2 shown]
	s_waitcnt lgkmcnt(0)
	s_barrier
	buffer_gl0_inv
	ds_store_b128 v64, v[6:9] offset:48
	ds_store_b128 v64, v[0:3] offset:16
	v_add_f64 v[0:1], v[226:227], -v[222:223]
	v_add_f64 v[2:3], v[228:229], -v[224:225]
	s_delay_alu instid0(VALU_DEP_2)
	v_fma_f64 v[6:7], v[226:227], 2.0, -v[0:1]
	ds_store_b128 v64, v[0:3] offset:32
	scratch_load_b32 v64, off, off offset:252 ; 4-byte Folded Reload
	v_fma_f64 v[8:9], v[228:229], 2.0, -v[2:3]
	v_add_f64 v[2:3], v[13:14], -v[17:18]
	v_add_f64 v[0:1], v[15:16], -v[19:20]
	;; [unrolled: 1-line block ×4, first 2 shown]
	s_delay_alu instid0(VALU_DEP_4) | instskip(NEXT) | instid1(VALU_DEP_4)
	v_fma_f64 v[21:22], v[13:14], 2.0, -v[2:3]
	v_fma_f64 v[23:24], v[15:16], 2.0, -v[0:1]
	s_delay_alu instid0(VALU_DEP_4) | instskip(NEXT) | instid1(VALU_DEP_4)
	v_add_f64 v[0:1], v[17:18], v[0:1]
	v_add_f64 v[2:3], v[19:20], -v[2:3]
	v_fma_f64 v[25:26], v[25:26], 2.0, -v[17:18]
	v_fma_f64 v[27:28], v[27:28], 2.0, -v[19:20]
	s_delay_alu instid0(VALU_DEP_4) | instskip(NEXT) | instid1(VALU_DEP_4)
	v_fma_f64 v[13:14], v[17:18], 2.0, -v[0:1]
	v_fma_f64 v[15:16], v[19:20], 2.0, -v[2:3]
	s_waitcnt vmcnt(0)
	ds_store_b128 v64, v[0:3] offset:48
	ds_store_b128 v64, v[13:16] offset:16
	v_add_f64 v[0:1], v[25:26], -v[21:22]
	v_add_f64 v[2:3], v[27:28], -v[23:24]
	;; [unrolled: 1-line block ×4, first 2 shown]
	s_delay_alu instid0(VALU_DEP_4)
	v_fma_f64 v[13:14], v[25:26], 2.0, -v[0:1]
	ds_store_b128 v64, v[0:3] offset:32
	scratch_load_b32 v64, off, off offset:248 ; 4-byte Folded Reload
	v_fma_f64 v[15:16], v[27:28], 2.0, -v[2:3]
	v_add_f64 v[2:3], v[56:57], -v[214:215]
	v_add_f64 v[0:1], v[58:59], -v[216:217]
	v_fma_f64 v[25:26], v[37:38], 2.0, -v[17:18]
	v_fma_f64 v[27:28], v[39:40], 2.0, -v[19:20]
	s_delay_alu instid0(VALU_DEP_4) | instskip(NEXT) | instid1(VALU_DEP_4)
	v_fma_f64 v[21:22], v[56:57], 2.0, -v[2:3]
	v_fma_f64 v[23:24], v[58:59], 2.0, -v[0:1]
	v_add_f64 v[0:1], v[17:18], v[0:1]
	v_add_f64 v[2:3], v[19:20], -v[2:3]
	s_delay_alu instid0(VALU_DEP_2) | instskip(NEXT) | instid1(VALU_DEP_2)
	v_fma_f64 v[17:18], v[17:18], 2.0, -v[0:1]
	v_fma_f64 v[19:20], v[19:20], 2.0, -v[2:3]
	s_waitcnt vmcnt(0)
	ds_store_b128 v64, v[0:3] offset:48
	ds_store_b128 v64, v[17:20] offset:16
	v_add_f64 v[0:1], v[25:26], -v[21:22]
	v_add_f64 v[2:3], v[27:28], -v[23:24]
	;; [unrolled: 1-line block ×4, first 2 shown]
	s_delay_alu instid0(VALU_DEP_4)
	v_fma_f64 v[17:18], v[25:26], 2.0, -v[0:1]
	ds_store_b128 v64, v[0:3] offset:32
	scratch_load_b32 v64, off, off offset:244 ; 4-byte Folded Reload
	v_fma_f64 v[19:20], v[27:28], 2.0, -v[2:3]
	v_add_f64 v[2:3], v[201:202], -v[218:219]
	v_add_f64 v[0:1], v[203:204], -v[220:221]
	v_fma_f64 v[37:38], v[52:53], 2.0, -v[21:22]
	v_fma_f64 v[39:40], v[54:55], 2.0, -v[23:24]
	s_delay_alu instid0(VALU_DEP_4) | instskip(NEXT) | instid1(VALU_DEP_4)
	v_fma_f64 v[25:26], v[201:202], 2.0, -v[2:3]
	v_fma_f64 v[27:28], v[203:204], 2.0, -v[0:1]
	v_add_f64 v[0:1], v[21:22], v[0:1]
	v_add_f64 v[2:3], v[23:24], -v[2:3]
	s_delay_alu instid0(VALU_DEP_2) | instskip(NEXT) | instid1(VALU_DEP_2)
	v_fma_f64 v[21:22], v[21:22], 2.0, -v[0:1]
	v_fma_f64 v[23:24], v[23:24], 2.0, -v[2:3]
	s_waitcnt vmcnt(0)
	ds_store_b128 v64, v[0:3] offset:48
	ds_store_b128 v64, v[21:24] offset:16
	v_add_f64 v[0:1], v[37:38], -v[25:26]
	v_add_f64 v[2:3], v[39:40], -v[27:28]
	;; [unrolled: 1-line block ×4, first 2 shown]
	s_delay_alu instid0(VALU_DEP_4) | instskip(NEXT) | instid1(VALU_DEP_4)
	v_fma_f64 v[21:22], v[37:38], 2.0, -v[0:1]
	v_fma_f64 v[23:24], v[39:40], 2.0, -v[2:3]
	ds_store_b128 v64, v[0:3] offset:32
	v_add_f64 v[2:3], v[45:46], -v[206:207]
	v_add_f64 v[0:1], v[47:48], -v[208:209]
	v_fma_f64 v[29:30], v[29:30], 2.0, -v[25:26]
	v_fma_f64 v[31:32], v[31:32], 2.0, -v[27:28]
	s_delay_alu instid0(VALU_DEP_4) | instskip(NEXT) | instid1(VALU_DEP_4)
	v_fma_f64 v[33:34], v[45:46], 2.0, -v[2:3]
	v_fma_f64 v[35:36], v[47:48], 2.0, -v[0:1]
	v_add_f64 v[0:1], v[25:26], v[0:1]
	v_add_f64 v[2:3], v[27:28], -v[2:3]
	s_delay_alu instid0(VALU_DEP_2) | instskip(NEXT) | instid1(VALU_DEP_2)
	v_fma_f64 v[25:26], v[25:26], 2.0, -v[0:1]
	v_fma_f64 v[27:28], v[27:28], 2.0, -v[2:3]
	ds_store_b128 v49, v[0:3] offset:48
	ds_store_b128 v49, v[25:28] offset:16
	v_add_f64 v[0:1], v[29:30], -v[33:34]
	v_add_f64 v[2:3], v[31:32], -v[35:36]
	s_delay_alu instid0(VALU_DEP_2) | instskip(NEXT) | instid1(VALU_DEP_2)
	v_fma_f64 v[25:26], v[29:30], 2.0, -v[0:1]
	v_fma_f64 v[27:28], v[31:32], 2.0, -v[2:3]
	ds_store_b128 v49, v[0:3] offset:32
	ds_store_b128 v49, v[6:9] offset:8192
	;; [unrolled: 1-line block ×4, first 2 shown]
	ds_store_b128 v49, v[25:28]
	ds_store_b128 v49, v[21:24] offset:32768
	s_waitcnt lgkmcnt(0)
	s_barrier
	buffer_gl0_inv
	ds_load_b128 v[0:3], v246 offset:10240
	s_waitcnt lgkmcnt(0)
	v_mul_f64 v[6:7], v[87:88], v[2:3]
	s_delay_alu instid0(VALU_DEP_1) | instskip(SKIP_1) | instid1(VALU_DEP_1)
	v_fma_f64 v[29:30], v[85:86], v[0:1], v[6:7]
	v_mul_f64 v[0:1], v[87:88], v[0:1]
	v_fma_f64 v[31:32], v[85:86], v[2:3], -v[0:1]
	ds_load_b128 v[0:3], v246 offset:12288
	s_waitcnt lgkmcnt(0)
	v_mul_f64 v[6:7], v[87:88], v[2:3]
	s_delay_alu instid0(VALU_DEP_1) | instskip(SKIP_1) | instid1(VALU_DEP_1)
	v_fma_f64 v[33:34], v[85:86], v[0:1], v[6:7]
	v_mul_f64 v[0:1], v[87:88], v[0:1]
	v_fma_f64 v[35:36], v[85:86], v[2:3], -v[0:1]
	;; [unrolled: 7-line block ×10, first 2 shown]
	ds_load_b128 v[0:3], v246 offset:30720
	s_waitcnt lgkmcnt(0)
	v_mul_f64 v[13:14], v[91:92], v[2:3]
	s_delay_alu instid0(VALU_DEP_1) | instskip(SKIP_1) | instid1(VALU_DEP_2)
	v_fma_f64 v[13:14], v[89:90], v[0:1], v[13:14]
	v_mul_f64 v[0:1], v[91:92], v[0:1]
	v_add_f64 v[220:221], v[29:30], -v[13:14]
	s_delay_alu instid0(VALU_DEP_2) | instskip(SKIP_4) | instid1(VALU_DEP_2)
	v_fma_f64 v[15:16], v[89:90], v[2:3], -v[0:1]
	ds_load_b128 v[0:3], v246 offset:32768
	s_waitcnt lgkmcnt(0)
	v_mul_f64 v[17:18], v[91:92], v[2:3]
	v_add_f64 v[218:219], v[31:32], -v[15:16]
	v_fma_f64 v[95:96], v[89:90], v[0:1], v[17:18]
	v_mul_f64 v[0:1], v[91:92], v[0:1]
	s_delay_alu instid0(VALU_DEP_1) | instskip(SKIP_3) | instid1(VALU_DEP_1)
	v_fma_f64 v[203:204], v[89:90], v[2:3], -v[0:1]
	ds_load_b128 v[0:3], v246 offset:34816
	s_waitcnt lgkmcnt(0)
	v_mul_f64 v[17:18], v[91:92], v[2:3]
	v_fma_f64 v[206:207], v[89:90], v[0:1], v[17:18]
	v_mul_f64 v[0:1], v[91:92], v[0:1]
	s_delay_alu instid0(VALU_DEP_1) | instskip(SKIP_3) | instid1(VALU_DEP_1)
	v_fma_f64 v[208:209], v[89:90], v[2:3], -v[0:1]
	ds_load_b128 v[0:3], v246 offset:36864
	s_waitcnt lgkmcnt(0)
	v_mul_f64 v[17:18], v[91:92], v[2:3]
	;; [unrolled: 7-line block ×3, first 2 shown]
	v_fma_f64 v[214:215], v[89:90], v[0:1], v[17:18]
	v_mul_f64 v[0:1], v[91:92], v[0:1]
	s_delay_alu instid0(VALU_DEP_1)
	v_fma_f64 v[89:90], v[89:90], v[2:3], -v[0:1]
	ds_load_b128 v[0:3], v246
	ds_load_b128 v[13:16], v246 offset:8192
	ds_load_b128 v[17:20], v246 offset:2048
	;; [unrolled: 1-line block ×4, first 2 shown]
	s_waitcnt lgkmcnt(0)
	s_barrier
	buffer_gl0_inv
	v_add_f64 v[6:7], v[0:1], -v[6:7]
	v_add_f64 v[8:9], v[2:3], -v[8:9]
	s_delay_alu instid0(VALU_DEP_2) | instskip(NEXT) | instid1(VALU_DEP_2)
	v_fma_f64 v[91:92], v[0:1], 2.0, -v[6:7]
	v_fma_f64 v[216:217], v[2:3], 2.0, -v[8:9]
	v_add_f64 v[0:1], v[6:7], v[218:219]
	v_add_f64 v[2:3], v[8:9], -v[220:221]
	s_delay_alu instid0(VALU_DEP_2) | instskip(NEXT) | instid1(VALU_DEP_2)
	v_fma_f64 v[6:7], v[6:7], 2.0, -v[0:1]
	v_fma_f64 v[8:9], v[8:9], 2.0, -v[2:3]
	ds_store_b128 v61, v[0:3] offset:192
	v_fma_f64 v[0:1], v[29:30], 2.0, -v[220:221]
	v_fma_f64 v[2:3], v[31:32], 2.0, -v[218:219]
	s_delay_alu instid0(VALU_DEP_2) | instskip(NEXT) | instid1(VALU_DEP_2)
	v_add_f64 v[0:1], v[91:92], -v[0:1]
	v_add_f64 v[2:3], v[216:217], -v[2:3]
	s_delay_alu instid0(VALU_DEP_2) | instskip(NEXT) | instid1(VALU_DEP_2)
	v_fma_f64 v[29:30], v[91:92], 2.0, -v[0:1]
	v_fma_f64 v[31:32], v[216:217], 2.0, -v[2:3]
	ds_store_b128 v61, v[0:3] offset:128
	ds_store_b128 v61, v[6:9] offset:64
	ds_store_b128 v61, v[29:32]
	v_add_f64 v[6:7], v[17:18], -v[52:53]
	v_add_f64 v[8:9], v[19:20], -v[54:55]
	;; [unrolled: 1-line block ×4, first 2 shown]
	s_delay_alu instid0(VALU_DEP_4) | instskip(NEXT) | instid1(VALU_DEP_4)
	v_fma_f64 v[17:18], v[17:18], 2.0, -v[6:7]
	v_fma_f64 v[19:20], v[19:20], 2.0, -v[8:9]
	s_delay_alu instid0(VALU_DEP_4) | instskip(NEXT) | instid1(VALU_DEP_4)
	v_add_f64 v[0:1], v[6:7], v[29:30]
	v_add_f64 v[2:3], v[8:9], -v[31:32]
	s_delay_alu instid0(VALU_DEP_2) | instskip(NEXT) | instid1(VALU_DEP_2)
	v_fma_f64 v[6:7], v[6:7], 2.0, -v[0:1]
	v_fma_f64 v[8:9], v[8:9], 2.0, -v[2:3]
	ds_store_b128 v63, v[0:3] offset:192
	v_fma_f64 v[0:1], v[33:34], 2.0, -v[31:32]
	v_fma_f64 v[2:3], v[35:36], 2.0, -v[29:30]
	s_delay_alu instid0(VALU_DEP_2) | instskip(NEXT) | instid1(VALU_DEP_2)
	v_add_f64 v[0:1], v[17:18], -v[0:1]
	v_add_f64 v[2:3], v[19:20], -v[2:3]
	s_delay_alu instid0(VALU_DEP_2) | instskip(NEXT) | instid1(VALU_DEP_2)
	v_fma_f64 v[17:18], v[17:18], 2.0, -v[0:1]
	v_fma_f64 v[19:20], v[19:20], 2.0, -v[2:3]
	ds_store_b128 v63, v[0:3] offset:128
	ds_store_b128 v63, v[6:9] offset:64
	ds_store_b128 v63, v[17:20]
	v_add_f64 v[6:7], v[21:22], -v[56:57]
	v_add_f64 v[8:9], v[23:24], -v[58:59]
	s_delay_alu instid0(VALU_DEP_2) | instskip(NEXT) | instid1(VALU_DEP_2)
	v_fma_f64 v[17:18], v[21:22], 2.0, -v[6:7]
	v_fma_f64 v[19:20], v[23:24], 2.0, -v[8:9]
	v_add_f64 v[21:22], v[39:40], -v[208:209]
	v_add_f64 v[23:24], v[37:38], -v[206:207]
	s_delay_alu instid0(VALU_DEP_2) | instskip(NEXT) | instid1(VALU_DEP_2)
	v_add_f64 v[0:1], v[6:7], v[21:22]
	v_add_f64 v[2:3], v[8:9], -v[23:24]
	s_delay_alu instid0(VALU_DEP_2) | instskip(NEXT) | instid1(VALU_DEP_2)
	v_fma_f64 v[6:7], v[6:7], 2.0, -v[0:1]
	v_fma_f64 v[8:9], v[8:9], 2.0, -v[2:3]
	ds_store_b128 v62, v[0:3] offset:192
	v_fma_f64 v[0:1], v[37:38], 2.0, -v[23:24]
	v_fma_f64 v[2:3], v[39:40], 2.0, -v[21:22]
	v_add_f64 v[21:22], v[43:44], -v[212:213]
	v_add_f64 v[23:24], v[41:42], -v[210:211]
	s_delay_alu instid0(VALU_DEP_4) | instskip(NEXT) | instid1(VALU_DEP_4)
	v_add_f64 v[0:1], v[17:18], -v[0:1]
	v_add_f64 v[2:3], v[19:20], -v[2:3]
	s_delay_alu instid0(VALU_DEP_2) | instskip(NEXT) | instid1(VALU_DEP_2)
	v_fma_f64 v[17:18], v[17:18], 2.0, -v[0:1]
	v_fma_f64 v[19:20], v[19:20], 2.0, -v[2:3]
	ds_store_b128 v62, v[0:3] offset:128
	ds_store_b128 v62, v[6:9] offset:64
	ds_store_b128 v62, v[17:20]
	v_add_f64 v[6:7], v[25:26], -v[85:86]
	v_add_f64 v[8:9], v[27:28], -v[87:88]
	s_delay_alu instid0(VALU_DEP_2) | instskip(NEXT) | instid1(VALU_DEP_2)
	v_add_f64 v[0:1], v[6:7], v[21:22]
	v_add_f64 v[2:3], v[8:9], -v[23:24]
	v_fma_f64 v[17:18], v[25:26], 2.0, -v[6:7]
	v_fma_f64 v[19:20], v[27:28], 2.0, -v[8:9]
	s_delay_alu instid0(VALU_DEP_4) | instskip(NEXT) | instid1(VALU_DEP_4)
	v_fma_f64 v[6:7], v[6:7], 2.0, -v[0:1]
	v_fma_f64 v[8:9], v[8:9], 2.0, -v[2:3]
	ds_store_b128 v60, v[0:3] offset:192
	v_fma_f64 v[0:1], v[41:42], 2.0, -v[23:24]
	v_fma_f64 v[2:3], v[43:44], 2.0, -v[21:22]
	s_delay_alu instid0(VALU_DEP_2) | instskip(NEXT) | instid1(VALU_DEP_2)
	v_add_f64 v[0:1], v[17:18], -v[0:1]
	v_add_f64 v[2:3], v[19:20], -v[2:3]
	s_delay_alu instid0(VALU_DEP_2) | instskip(NEXT) | instid1(VALU_DEP_2)
	v_fma_f64 v[17:18], v[17:18], 2.0, -v[0:1]
	v_fma_f64 v[19:20], v[19:20], 2.0, -v[2:3]
	ds_store_b128 v60, v[0:3] offset:128
	ds_store_b128 v60, v[6:9] offset:64
	ds_store_b128 v60, v[17:20]
	v_add_f64 v[6:7], v[13:14], -v[201:202]
	v_add_f64 v[8:9], v[15:16], -v[93:94]
	;; [unrolled: 1-line block ×4, first 2 shown]
	s_delay_alu instid0(VALU_DEP_4) | instskip(NEXT) | instid1(VALU_DEP_4)
	v_fma_f64 v[13:14], v[13:14], 2.0, -v[6:7]
	v_fma_f64 v[15:16], v[15:16], 2.0, -v[8:9]
	s_delay_alu instid0(VALU_DEP_4) | instskip(NEXT) | instid1(VALU_DEP_4)
	v_add_f64 v[0:1], v[6:7], v[17:18]
	v_add_f64 v[2:3], v[8:9], -v[19:20]
	s_delay_alu instid0(VALU_DEP_2) | instskip(NEXT) | instid1(VALU_DEP_2)
	v_fma_f64 v[6:7], v[6:7], 2.0, -v[0:1]
	v_fma_f64 v[8:9], v[8:9], 2.0, -v[2:3]
	ds_store_b128 v205, v[0:3] offset:192
	v_fma_f64 v[0:1], v[45:46], 2.0, -v[19:20]
	v_fma_f64 v[2:3], v[47:48], 2.0, -v[17:18]
	s_delay_alu instid0(VALU_DEP_2) | instskip(NEXT) | instid1(VALU_DEP_2)
	v_add_f64 v[0:1], v[13:14], -v[0:1]
	v_add_f64 v[2:3], v[15:16], -v[2:3]
	s_delay_alu instid0(VALU_DEP_2) | instskip(NEXT) | instid1(VALU_DEP_2)
	v_fma_f64 v[13:14], v[13:14], 2.0, -v[0:1]
	v_fma_f64 v[15:16], v[15:16], 2.0, -v[2:3]
	ds_store_b128 v205, v[0:3] offset:128
	ds_store_b128 v205, v[6:9] offset:64
	ds_store_b128 v205, v[13:16]
	s_waitcnt lgkmcnt(0)
	s_barrier
	buffer_gl0_inv
	ds_load_b128 v[0:3], v246 offset:10240
	s_waitcnt lgkmcnt(0)
	v_mul_f64 v[6:7], v[99:100], v[2:3]
	s_delay_alu instid0(VALU_DEP_1) | instskip(SKIP_1) | instid1(VALU_DEP_1)
	v_fma_f64 v[29:30], v[97:98], v[0:1], v[6:7]
	v_mul_f64 v[0:1], v[99:100], v[0:1]
	v_fma_f64 v[31:32], v[97:98], v[2:3], -v[0:1]
	ds_load_b128 v[0:3], v246 offset:12288
	s_waitcnt lgkmcnt(0)
	v_mul_f64 v[6:7], v[99:100], v[2:3]
	s_delay_alu instid0(VALU_DEP_1) | instskip(SKIP_1) | instid1(VALU_DEP_1)
	v_fma_f64 v[33:34], v[97:98], v[0:1], v[6:7]
	v_mul_f64 v[0:1], v[99:100], v[0:1]
	v_fma_f64 v[35:36], v[97:98], v[2:3], -v[0:1]
	ds_load_b128 v[0:3], v246 offset:14336
	s_waitcnt lgkmcnt(0)
	v_mul_f64 v[6:7], v[99:100], v[2:3]
	s_delay_alu instid0(VALU_DEP_1) | instskip(SKIP_1) | instid1(VALU_DEP_1)
	v_fma_f64 v[37:38], v[97:98], v[0:1], v[6:7]
	v_mul_f64 v[0:1], v[99:100], v[0:1]
	v_fma_f64 v[39:40], v[97:98], v[2:3], -v[0:1]
	ds_load_b128 v[0:3], v246 offset:16384
	s_waitcnt lgkmcnt(0)
	v_mul_f64 v[6:7], v[99:100], v[2:3]
	s_delay_alu instid0(VALU_DEP_1) | instskip(SKIP_1) | instid1(VALU_DEP_1)
	v_fma_f64 v[41:42], v[97:98], v[0:1], v[6:7]
	v_mul_f64 v[0:1], v[99:100], v[0:1]
	v_fma_f64 v[43:44], v[97:98], v[2:3], -v[0:1]
	ds_load_b128 v[0:3], v246 offset:18432
	s_waitcnt lgkmcnt(0)
	v_mul_f64 v[6:7], v[99:100], v[2:3]
	s_delay_alu instid0(VALU_DEP_1) | instskip(SKIP_1) | instid1(VALU_DEP_1)
	v_fma_f64 v[45:46], v[97:98], v[0:1], v[6:7]
	v_mul_f64 v[0:1], v[99:100], v[0:1]
	v_fma_f64 v[47:48], v[97:98], v[2:3], -v[0:1]
	ds_load_b128 v[0:3], v246 offset:20480
	s_waitcnt lgkmcnt(0)
	v_mul_f64 v[6:7], v[107:108], v[2:3]
	s_delay_alu instid0(VALU_DEP_1) | instskip(SKIP_1) | instid1(VALU_DEP_1)
	v_fma_f64 v[6:7], v[105:106], v[0:1], v[6:7]
	v_mul_f64 v[0:1], v[107:108], v[0:1]
	v_fma_f64 v[8:9], v[105:106], v[2:3], -v[0:1]
	ds_load_b128 v[0:3], v246 offset:22528
	s_waitcnt lgkmcnt(0)
	v_mul_f64 v[13:14], v[107:108], v[2:3]
	s_delay_alu instid0(VALU_DEP_1) | instskip(SKIP_1) | instid1(VALU_DEP_1)
	v_fma_f64 v[52:53], v[105:106], v[0:1], v[13:14]
	v_mul_f64 v[0:1], v[107:108], v[0:1]
	v_fma_f64 v[54:55], v[105:106], v[2:3], -v[0:1]
	ds_load_b128 v[0:3], v246 offset:24576
	s_waitcnt lgkmcnt(0)
	v_mul_f64 v[13:14], v[107:108], v[2:3]
	s_delay_alu instid0(VALU_DEP_1) | instskip(SKIP_1) | instid1(VALU_DEP_1)
	v_fma_f64 v[56:57], v[105:106], v[0:1], v[13:14]
	v_mul_f64 v[0:1], v[107:108], v[0:1]
	v_fma_f64 v[58:59], v[105:106], v[2:3], -v[0:1]
	ds_load_b128 v[0:3], v246 offset:26624
	s_waitcnt lgkmcnt(0)
	v_mul_f64 v[13:14], v[107:108], v[2:3]
	s_delay_alu instid0(VALU_DEP_1) | instskip(SKIP_1) | instid1(VALU_DEP_1)
	v_fma_f64 v[60:61], v[105:106], v[0:1], v[13:14]
	v_mul_f64 v[0:1], v[107:108], v[0:1]
	v_fma_f64 v[62:63], v[105:106], v[2:3], -v[0:1]
	ds_load_b128 v[0:3], v246 offset:28672
	s_waitcnt lgkmcnt(0)
	v_mul_f64 v[13:14], v[107:108], v[2:3]
	s_delay_alu instid0(VALU_DEP_1) | instskip(SKIP_1) | instid1(VALU_DEP_1)
	v_fma_f64 v[85:86], v[105:106], v[0:1], v[13:14]
	v_mul_f64 v[0:1], v[107:108], v[0:1]
	v_fma_f64 v[87:88], v[105:106], v[2:3], -v[0:1]
	ds_load_b128 v[0:3], v246 offset:30720
	s_waitcnt lgkmcnt(0)
	v_mul_f64 v[13:14], v[103:104], v[2:3]
	s_delay_alu instid0(VALU_DEP_1) | instskip(SKIP_1) | instid1(VALU_DEP_2)
	v_fma_f64 v[13:14], v[101:102], v[0:1], v[13:14]
	v_mul_f64 v[0:1], v[103:104], v[0:1]
	v_add_f64 v[203:204], v[29:30], -v[13:14]
	s_delay_alu instid0(VALU_DEP_2) | instskip(SKIP_4) | instid1(VALU_DEP_2)
	v_fma_f64 v[15:16], v[101:102], v[2:3], -v[0:1]
	ds_load_b128 v[0:3], v246 offset:32768
	s_waitcnt lgkmcnt(0)
	v_mul_f64 v[17:18], v[103:104], v[2:3]
	v_add_f64 v[201:202], v[31:32], -v[15:16]
	v_fma_f64 v[89:90], v[101:102], v[0:1], v[17:18]
	v_mul_f64 v[0:1], v[103:104], v[0:1]
	s_delay_alu instid0(VALU_DEP_1) | instskip(SKIP_3) | instid1(VALU_DEP_1)
	v_fma_f64 v[91:92], v[101:102], v[2:3], -v[0:1]
	ds_load_b128 v[0:3], v246 offset:34816
	s_waitcnt lgkmcnt(0)
	v_mul_f64 v[17:18], v[103:104], v[2:3]
	v_fma_f64 v[93:94], v[101:102], v[0:1], v[17:18]
	v_mul_f64 v[0:1], v[103:104], v[0:1]
	s_delay_alu instid0(VALU_DEP_1) | instskip(SKIP_3) | instid1(VALU_DEP_1)
	v_fma_f64 v[95:96], v[101:102], v[2:3], -v[0:1]
	ds_load_b128 v[0:3], v246 offset:36864
	s_waitcnt lgkmcnt(0)
	v_mul_f64 v[17:18], v[103:104], v[2:3]
	;; [unrolled: 7-line block ×3, first 2 shown]
	v_fma_f64 v[105:106], v[101:102], v[0:1], v[17:18]
	v_mul_f64 v[0:1], v[103:104], v[0:1]
	s_delay_alu instid0(VALU_DEP_1)
	v_fma_f64 v[101:102], v[101:102], v[2:3], -v[0:1]
	ds_load_b128 v[0:3], v246
	ds_load_b128 v[13:16], v246 offset:8192
	ds_load_b128 v[17:20], v246 offset:2048
	;; [unrolled: 1-line block ×4, first 2 shown]
	s_waitcnt lgkmcnt(0)
	s_barrier
	buffer_gl0_inv
	v_add_f64 v[6:7], v[0:1], -v[6:7]
	v_add_f64 v[8:9], v[2:3], -v[8:9]
	s_delay_alu instid0(VALU_DEP_2) | instskip(NEXT) | instid1(VALU_DEP_2)
	v_fma_f64 v[103:104], v[0:1], 2.0, -v[6:7]
	v_fma_f64 v[107:108], v[2:3], 2.0, -v[8:9]
	v_add_f64 v[0:1], v[6:7], v[201:202]
	v_add_f64 v[2:3], v[8:9], -v[203:204]
	s_delay_alu instid0(VALU_DEP_2) | instskip(NEXT) | instid1(VALU_DEP_2)
	v_fma_f64 v[6:7], v[6:7], 2.0, -v[0:1]
	v_fma_f64 v[8:9], v[8:9], 2.0, -v[2:3]
	ds_store_b128 v10, v[0:3] offset:768
	v_fma_f64 v[0:1], v[29:30], 2.0, -v[203:204]
	v_fma_f64 v[2:3], v[31:32], 2.0, -v[201:202]
	s_delay_alu instid0(VALU_DEP_2) | instskip(NEXT) | instid1(VALU_DEP_2)
	v_add_f64 v[0:1], v[103:104], -v[0:1]
	v_add_f64 v[2:3], v[107:108], -v[2:3]
	s_delay_alu instid0(VALU_DEP_2) | instskip(NEXT) | instid1(VALU_DEP_2)
	v_fma_f64 v[29:30], v[103:104], 2.0, -v[0:1]
	v_fma_f64 v[31:32], v[107:108], 2.0, -v[2:3]
	ds_store_b128 v10, v[0:3] offset:512
	ds_store_b128 v10, v[6:9] offset:256
	ds_store_b128 v10, v[29:32]
	v_add_f64 v[6:7], v[17:18], -v[52:53]
	v_add_f64 v[8:9], v[19:20], -v[54:55]
	;; [unrolled: 1-line block ×4, first 2 shown]
	s_delay_alu instid0(VALU_DEP_4) | instskip(NEXT) | instid1(VALU_DEP_4)
	v_fma_f64 v[17:18], v[17:18], 2.0, -v[6:7]
	v_fma_f64 v[19:20], v[19:20], 2.0, -v[8:9]
	s_delay_alu instid0(VALU_DEP_4) | instskip(NEXT) | instid1(VALU_DEP_4)
	v_add_f64 v[0:1], v[6:7], v[29:30]
	v_add_f64 v[2:3], v[8:9], -v[31:32]
	s_delay_alu instid0(VALU_DEP_2) | instskip(NEXT) | instid1(VALU_DEP_2)
	v_fma_f64 v[6:7], v[6:7], 2.0, -v[0:1]
	v_fma_f64 v[8:9], v[8:9], 2.0, -v[2:3]
	ds_store_b128 v11, v[0:3] offset:768
	v_fma_f64 v[0:1], v[33:34], 2.0, -v[31:32]
	v_fma_f64 v[2:3], v[35:36], 2.0, -v[29:30]
	s_delay_alu instid0(VALU_DEP_2) | instskip(NEXT) | instid1(VALU_DEP_2)
	v_add_f64 v[0:1], v[17:18], -v[0:1]
	v_add_f64 v[2:3], v[19:20], -v[2:3]
	s_delay_alu instid0(VALU_DEP_2) | instskip(NEXT) | instid1(VALU_DEP_2)
	v_fma_f64 v[17:18], v[17:18], 2.0, -v[0:1]
	v_fma_f64 v[19:20], v[19:20], 2.0, -v[2:3]
	ds_store_b128 v11, v[0:3] offset:512
	ds_store_b128 v11, v[6:9] offset:256
	ds_store_b128 v11, v[17:20]
	v_add_f64 v[6:7], v[21:22], -v[56:57]
	v_add_f64 v[8:9], v[23:24], -v[58:59]
	;; [unrolled: 1-line block ×3, first 2 shown]
	s_delay_alu instid0(VALU_DEP_3) | instskip(SKIP_1) | instid1(VALU_DEP_3)
	v_fma_f64 v[10:11], v[21:22], 2.0, -v[6:7]
	v_add_f64 v[21:22], v[37:38], -v[93:94]
	v_add_f64 v[0:1], v[6:7], v[17:18]
	v_fma_f64 v[19:20], v[23:24], 2.0, -v[8:9]
	s_delay_alu instid0(VALU_DEP_3) | instskip(NEXT) | instid1(VALU_DEP_3)
	v_add_f64 v[2:3], v[8:9], -v[21:22]
	v_fma_f64 v[6:7], v[6:7], 2.0, -v[0:1]
	s_delay_alu instid0(VALU_DEP_2) | instskip(SKIP_4) | instid1(VALU_DEP_3)
	v_fma_f64 v[8:9], v[8:9], 2.0, -v[2:3]
	ds_store_b128 v51, v[0:3] offset:768
	v_fma_f64 v[0:1], v[37:38], 2.0, -v[21:22]
	v_fma_f64 v[2:3], v[39:40], 2.0, -v[17:18]
	v_add_f64 v[21:22], v[41:42], -v[97:98]
	v_add_f64 v[0:1], v[10:11], -v[0:1]
	s_delay_alu instid0(VALU_DEP_3) | instskip(NEXT) | instid1(VALU_DEP_2)
	v_add_f64 v[2:3], v[19:20], -v[2:3]
	v_fma_f64 v[17:18], v[10:11], 2.0, -v[0:1]
	s_delay_alu instid0(VALU_DEP_2)
	v_fma_f64 v[19:20], v[19:20], 2.0, -v[2:3]
	ds_store_b128 v51, v[0:3] offset:512
	ds_store_b128 v51, v[6:9] offset:256
	ds_store_b128 v51, v[17:20]
	v_add_f64 v[6:7], v[25:26], -v[60:61]
	v_add_f64 v[8:9], v[27:28], -v[62:63]
	;; [unrolled: 1-line block ×3, first 2 shown]
	s_delay_alu instid0(VALU_DEP_3) | instskip(NEXT) | instid1(VALU_DEP_3)
	v_fma_f64 v[10:11], v[25:26], 2.0, -v[6:7]
	v_add_f64 v[2:3], v[8:9], -v[21:22]
	s_delay_alu instid0(VALU_DEP_3) | instskip(SKIP_1) | instid1(VALU_DEP_3)
	v_add_f64 v[0:1], v[6:7], v[17:18]
	v_fma_f64 v[19:20], v[27:28], 2.0, -v[8:9]
	v_fma_f64 v[8:9], v[8:9], 2.0, -v[2:3]
	s_delay_alu instid0(VALU_DEP_3) | instskip(SKIP_3) | instid1(VALU_DEP_2)
	v_fma_f64 v[6:7], v[6:7], 2.0, -v[0:1]
	ds_store_b128 v50, v[0:3] offset:768
	v_fma_f64 v[0:1], v[41:42], 2.0, -v[21:22]
	v_fma_f64 v[2:3], v[43:44], 2.0, -v[17:18]
	v_add_f64 v[0:1], v[10:11], -v[0:1]
	s_delay_alu instid0(VALU_DEP_2) | instskip(NEXT) | instid1(VALU_DEP_2)
	v_add_f64 v[2:3], v[19:20], -v[2:3]
	v_fma_f64 v[17:18], v[10:11], 2.0, -v[0:1]
	s_delay_alu instid0(VALU_DEP_2)
	v_fma_f64 v[19:20], v[19:20], 2.0, -v[2:3]
	ds_store_b128 v50, v[0:3] offset:512
	ds_store_b128 v50, v[6:9] offset:256
	ds_store_b128 v50, v[17:20]
	v_add_f64 v[6:7], v[13:14], -v[85:86]
	v_add_f64 v[8:9], v[15:16], -v[87:88]
	v_add_f64 v[17:18], v[45:46], -v[105:106]
	s_delay_alu instid0(VALU_DEP_3) | instskip(SKIP_1) | instid1(VALU_DEP_3)
	v_fma_f64 v[10:11], v[13:14], 2.0, -v[6:7]
	v_add_f64 v[13:14], v[47:48], -v[101:102]
	v_add_f64 v[2:3], v[8:9], -v[17:18]
	v_fma_f64 v[15:16], v[15:16], 2.0, -v[8:9]
	s_delay_alu instid0(VALU_DEP_3) | instskip(NEXT) | instid1(VALU_DEP_3)
	v_add_f64 v[0:1], v[6:7], v[13:14]
	v_fma_f64 v[8:9], v[8:9], 2.0, -v[2:3]
	s_delay_alu instid0(VALU_DEP_2) | instskip(SKIP_3) | instid1(VALU_DEP_2)
	v_fma_f64 v[6:7], v[6:7], 2.0, -v[0:1]
	ds_store_b128 v5, v[0:3] offset:768
	v_fma_f64 v[0:1], v[45:46], 2.0, -v[17:18]
	v_fma_f64 v[2:3], v[47:48], 2.0, -v[13:14]
	v_add_f64 v[0:1], v[10:11], -v[0:1]
	s_delay_alu instid0(VALU_DEP_2) | instskip(NEXT) | instid1(VALU_DEP_2)
	v_add_f64 v[2:3], v[15:16], -v[2:3]
	v_fma_f64 v[13:14], v[10:11], 2.0, -v[0:1]
	s_delay_alu instid0(VALU_DEP_2)
	v_fma_f64 v[15:16], v[15:16], 2.0, -v[2:3]
	ds_store_b128 v5, v[0:3] offset:512
	ds_store_b128 v5, v[6:9] offset:256
	ds_store_b128 v5, v[13:16]
	s_waitcnt lgkmcnt(0)
	s_barrier
	buffer_gl0_inv
	ds_load_b128 v[0:3], v246 offset:4096
	s_waitcnt lgkmcnt(0)
	v_mul_f64 v[5:6], v[115:116], v[2:3]
	s_delay_alu instid0(VALU_DEP_1) | instskip(SKIP_1) | instid1(VALU_DEP_1)
	v_fma_f64 v[201:202], v[113:114], v[0:1], v[5:6]
	v_mul_f64 v[0:1], v[115:116], v[0:1]
	v_fma_f64 v[203:204], v[113:114], v[2:3], -v[0:1]
	ds_load_b128 v[0:3], v246 offset:6144
	s_waitcnt lgkmcnt(0)
	v_mul_f64 v[5:6], v[115:116], v[2:3]
	s_delay_alu instid0(VALU_DEP_1) | instskip(SKIP_1) | instid1(VALU_DEP_1)
	v_fma_f64 v[85:86], v[113:114], v[0:1], v[5:6]
	v_mul_f64 v[0:1], v[115:116], v[0:1]
	v_fma_f64 v[87:88], v[113:114], v[2:3], -v[0:1]
	;; [unrolled: 7-line block ×5, first 2 shown]
	ds_load_b128 v[0:3], v246 offset:14336
	s_waitcnt lgkmcnt(0)
	v_mul_f64 v[5:6], v[135:136], v[2:3]
	v_add_f64 v[7:8], v[203:204], v[139:140]
	s_delay_alu instid0(VALU_DEP_2) | instskip(SKIP_1) | instid1(VALU_DEP_1)
	v_fma_f64 v[93:94], v[133:134], v[0:1], v[5:6]
	v_mul_f64 v[0:1], v[135:136], v[0:1]
	v_fma_f64 v[95:96], v[133:134], v[2:3], -v[0:1]
	ds_load_b128 v[0:3], v246 offset:16384
	s_waitcnt lgkmcnt(0)
	v_mul_f64 v[5:6], v[123:124], v[2:3]
	s_delay_alu instid0(VALU_DEP_1) | instskip(SKIP_1) | instid1(VALU_DEP_1)
	v_fma_f64 v[133:134], v[121:122], v[0:1], v[5:6]
	v_mul_f64 v[0:1], v[123:124], v[0:1]
	v_fma_f64 v[135:136], v[121:122], v[2:3], -v[0:1]
	ds_load_b128 v[0:3], v246 offset:18432
	s_waitcnt lgkmcnt(0)
	v_mul_f64 v[5:6], v[123:124], v[2:3]
	v_add_f64 v[27:28], v[135:136], -v[208:209]
	s_delay_alu instid0(VALU_DEP_2) | instskip(SKIP_1) | instid1(VALU_DEP_1)
	v_fma_f64 v[97:98], v[121:122], v[0:1], v[5:6]
	v_mul_f64 v[0:1], v[123:124], v[0:1]
	v_fma_f64 v[99:100], v[121:122], v[2:3], -v[0:1]
	ds_load_b128 v[0:3], v246 offset:24576
	s_waitcnt lgkmcnt(0)
	v_mul_f64 v[5:6], v[131:132], v[2:3]
	s_delay_alu instid0(VALU_DEP_1) | instskip(SKIP_1) | instid1(VALU_DEP_2)
	v_fma_f64 v[121:122], v[129:130], v[0:1], v[5:6]
	v_mul_f64 v[0:1], v[131:132], v[0:1]
	v_add_f64 v[212:213], v[133:134], -v[121:122]
	s_delay_alu instid0(VALU_DEP_2) | instskip(SKIP_4) | instid1(VALU_DEP_2)
	v_fma_f64 v[123:124], v[129:130], v[2:3], -v[0:1]
	ds_load_b128 v[0:3], v246 offset:26624
	s_waitcnt lgkmcnt(0)
	v_mul_f64 v[5:6], v[131:132], v[2:3]
	v_add_f64 v[63:64], v[135:136], -v[123:124]
	v_fma_f64 v[101:102], v[129:130], v[0:1], v[5:6]
	v_mul_f64 v[0:1], v[131:132], v[0:1]
	s_delay_alu instid0(VALU_DEP_1) | instskip(SKIP_3) | instid1(VALU_DEP_1)
	v_fma_f64 v[103:104], v[129:130], v[2:3], -v[0:1]
	ds_load_b128 v[0:3], v246 offset:32768
	s_waitcnt lgkmcnt(0)
	v_mul_f64 v[5:6], v[127:128], v[2:3]
	v_fma_f64 v[129:130], v[125:126], v[0:1], v[5:6]
	v_mul_f64 v[0:1], v[127:128], v[0:1]
	s_delay_alu instid0(VALU_DEP_1)
	v_fma_f64 v[131:132], v[125:126], v[2:3], -v[0:1]
	ds_load_b128 v[0:3], v246 offset:34816
	s_waitcnt lgkmcnt(0)
	v_mul_f64 v[5:6], v[127:128], v[2:3]
	v_add_f64 v[61:62], v[208:209], -v[131:132]
	v_add_f64 v[33:34], v[123:124], -v[131:132]
	s_delay_alu instid0(VALU_DEP_3) | instskip(SKIP_1) | instid1(VALU_DEP_3)
	v_fma_f64 v[105:106], v[125:126], v[0:1], v[5:6]
	v_mul_f64 v[0:1], v[127:128], v[0:1]
	v_add_f64 v[33:34], v[27:28], v[33:34]
	s_delay_alu instid0(VALU_DEP_2) | instskip(SKIP_3) | instid1(VALU_DEP_1)
	v_fma_f64 v[107:108], v[125:126], v[2:3], -v[0:1]
	ds_load_b128 v[0:3], v246 offset:20480
	s_waitcnt lgkmcnt(0)
	v_mul_f64 v[5:6], v[119:120], v[2:3]
	v_fma_f64 v[125:126], v[117:118], v[0:1], v[5:6]
	v_mul_f64 v[0:1], v[119:120], v[0:1]
	s_delay_alu instid0(VALU_DEP_1)
	v_fma_f64 v[127:128], v[117:118], v[2:3], -v[0:1]
	ds_load_b128 v[0:3], v246 offset:22528
	s_waitcnt lgkmcnt(0)
	v_mul_f64 v[5:6], v[119:120], v[2:3]
	v_add_f64 v[7:8], v[7:8], v[127:128]
	v_add_f64 v[35:36], v[127:128], -v[139:140]
	s_delay_alu instid0(VALU_DEP_3) | instskip(SKIP_1) | instid1(VALU_DEP_1)
	v_fma_f64 v[113:114], v[117:118], v[0:1], v[5:6]
	v_mul_f64 v[0:1], v[119:120], v[0:1]
	v_fma_f64 v[115:116], v[117:118], v[2:3], -v[0:1]
	ds_load_b128 v[0:3], v246 offset:28672
	s_waitcnt lgkmcnt(0)
	v_mul_f64 v[5:6], v[111:112], v[2:3]
	s_delay_alu instid0(VALU_DEP_1) | instskip(SKIP_1) | instid1(VALU_DEP_2)
	v_fma_f64 v[119:120], v[109:110], v[0:1], v[5:6]
	v_mul_f64 v[0:1], v[111:112], v[0:1]
	v_add_f64 v[55:56], v[125:126], -v[119:120]
	s_delay_alu instid0(VALU_DEP_2)
	v_fma_f64 v[210:211], v[109:110], v[2:3], -v[0:1]
	ds_load_b128 v[0:3], v246 offset:30720
	s_waitcnt lgkmcnt(0)
	v_mul_f64 v[5:6], v[111:112], v[2:3]
	v_add_f64 v[7:8], v[7:8], v[210:211]
	v_add_f64 v[59:60], v[127:128], -v[210:211]
	s_delay_alu instid0(VALU_DEP_3) | instskip(SKIP_1) | instid1(VALU_DEP_1)
	v_fma_f64 v[117:118], v[109:110], v[0:1], v[5:6]
	v_mul_f64 v[0:1], v[111:112], v[0:1]
	v_fma_f64 v[109:110], v[109:110], v[2:3], -v[0:1]
	ds_load_b128 v[0:3], v246 offset:36864
	s_waitcnt lgkmcnt(0)
	v_mul_f64 v[5:6], v[83:84], v[2:3]
	s_delay_alu instid0(VALU_DEP_1) | instskip(SKIP_1) | instid1(VALU_DEP_2)
	v_fma_f64 v[9:10], v[81:82], v[0:1], v[5:6]
	v_mul_f64 v[0:1], v[83:84], v[0:1]
	v_add_f64 v[53:54], v[137:138], -v[9:10]
	s_delay_alu instid0(VALU_DEP_2)
	v_fma_f64 v[21:22], v[81:82], v[2:3], -v[0:1]
	ds_load_b128 v[0:3], v246 offset:38912
	s_waitcnt lgkmcnt(0)
	v_mul_f64 v[5:6], v[83:84], v[2:3]
	v_add_f64 v[7:8], v[7:8], v[21:22]
	v_add_f64 v[57:58], v[139:140], -v[21:22]
	s_delay_alu instid0(VALU_DEP_3) | instskip(SKIP_3) | instid1(VALU_DEP_3)
	v_fma_f64 v[111:112], v[81:82], v[0:1], v[5:6]
	v_mul_f64 v[0:1], v[83:84], v[0:1]
	v_add_f64 v[5:6], v[133:134], v[121:122]
	v_add_f64 v[83:84], v[206:207], -v[129:130]
	v_fma_f64 v[81:82], v[81:82], v[2:3], -v[0:1]
	ds_load_b128 v[0:3], v246
	s_waitcnt lgkmcnt(0)
	v_fma_f64 v[37:38], v[5:6], -0.5, v[0:1]
	v_add_f64 v[5:6], v[206:207], v[129:130]
	s_delay_alu instid0(VALU_DEP_1) | instskip(SKIP_2) | instid1(VALU_DEP_2)
	v_fma_f64 v[29:30], v[5:6], -0.5, v[0:1]
	v_add_f64 v[5:6], v[135:136], v[123:124]
	v_add_f64 v[0:1], v[0:1], v[206:207]
	v_fma_f64 v[39:40], v[5:6], -0.5, v[2:3]
	v_add_f64 v[5:6], v[208:209], v[131:132]
	s_delay_alu instid0(VALU_DEP_3) | instskip(NEXT) | instid1(VALU_DEP_2)
	v_add_f64 v[0:1], v[0:1], v[133:134]
	v_fma_f64 v[31:32], v[5:6], -0.5, v[2:3]
	v_add_f64 v[2:3], v[2:3], v[208:209]
	v_add_f64 v[5:6], v[201:202], v[137:138]
	s_delay_alu instid0(VALU_DEP_4) | instskip(NEXT) | instid1(VALU_DEP_3)
	v_add_f64 v[0:1], v[0:1], v[121:122]
	v_add_f64 v[2:3], v[2:3], v[135:136]
	s_delay_alu instid0(VALU_DEP_3) | instskip(NEXT) | instid1(VALU_DEP_3)
	v_add_f64 v[5:6], v[5:6], v[125:126]
	v_add_f64 v[13:14], v[0:1], v[129:130]
	s_delay_alu instid0(VALU_DEP_3) | instskip(NEXT) | instid1(VALU_DEP_3)
	v_add_f64 v[2:3], v[2:3], v[123:124]
	v_add_f64 v[5:6], v[5:6], v[119:120]
	s_delay_alu instid0(VALU_DEP_2) | instskip(NEXT) | instid1(VALU_DEP_2)
	v_add_f64 v[15:16], v[2:3], v[131:132]
	v_add_f64 v[5:6], v[5:6], v[9:10]
	s_delay_alu instid0(VALU_DEP_2) | instskip(NEXT) | instid1(VALU_DEP_2)
	v_add_f64 v[2:3], v[15:16], v[7:8]
	v_add_f64 v[0:1], v[13:14], v[5:6]
	v_add_f64 v[5:6], v[13:14], -v[5:6]
	v_add_f64 v[7:8], v[15:16], -v[7:8]
	;; [unrolled: 1-line block ×4, first 2 shown]
	s_delay_alu instid0(VALU_DEP_1) | instskip(SKIP_3) | instid1(VALU_DEP_2)
	v_add_f64 v[41:42], v[13:14], v[15:16]
	v_add_f64 v[13:14], v[208:209], -v[135:136]
	v_add_f64 v[15:16], v[131:132], -v[123:124]
	v_add_f64 v[123:124], v[125:126], -v[137:138]
	v_add_f64 v[43:44], v[13:14], v[15:16]
	v_add_f64 v[13:14], v[137:138], -v[125:126]
	v_add_f64 v[15:16], v[9:10], -v[119:120]
	s_delay_alu instid0(VALU_DEP_1) | instskip(SKIP_2) | instid1(VALU_DEP_1)
	v_add_f64 v[45:46], v[13:14], v[15:16]
	v_add_f64 v[13:14], v[139:140], -v[127:128]
	v_add_f64 v[15:16], v[21:22], -v[210:211]
	v_add_f64 v[47:48], v[13:14], v[15:16]
	v_add_f64 v[13:14], v[125:126], v[119:120]
	v_add_f64 v[119:120], v[119:120], -v[9:10]
	v_add_f64 v[9:10], v[137:138], v[9:10]
	s_delay_alu instid0(VALU_DEP_3) | instskip(SKIP_1) | instid1(VALU_DEP_3)
	v_fma_f64 v[49:50], v[13:14], -0.5, v[201:202]
	v_add_f64 v[13:14], v[127:128], v[210:211]
	v_fma_f64 v[9:10], v[9:10], -0.5, v[201:202]
	v_add_f64 v[119:120], v[123:124], v[119:120]
	s_delay_alu instid0(VALU_DEP_4) | instskip(NEXT) | instid1(VALU_DEP_4)
	v_fma_f64 v[15:16], v[57:58], s[18:19], v[49:50]
	v_fma_f64 v[51:52], v[13:14], -0.5, v[203:204]
	v_fma_f64 v[49:50], v[57:58], s[16:17], v[49:50]
	s_delay_alu instid0(VALU_DEP_3) | instskip(NEXT) | instid1(VALU_DEP_3)
	v_fma_f64 v[15:16], v[59:60], s[14:15], v[15:16]
	v_fma_f64 v[13:14], v[53:54], s[16:17], v[51:52]
	s_delay_alu instid0(VALU_DEP_3) | instskip(NEXT) | instid1(VALU_DEP_3)
	v_fma_f64 v[49:50], v[59:60], s[8:9], v[49:50]
	v_fma_f64 v[15:16], v[45:46], s[12:13], v[15:16]
	s_delay_alu instid0(VALU_DEP_3) | instskip(NEXT) | instid1(VALU_DEP_1)
	v_fma_f64 v[13:14], v[55:56], s[8:9], v[13:14]
	v_fma_f64 v[13:14], v[47:48], s[12:13], v[13:14]
	s_delay_alu instid0(VALU_DEP_1) | instskip(SKIP_1) | instid1(VALU_DEP_2)
	v_mul_f64 v[17:18], v[13:14], s[14:15]
	v_mul_f64 v[13:14], v[13:14], s[20:21]
	v_fma_f64 v[17:18], v[15:16], s[20:21], v[17:18]
	s_delay_alu instid0(VALU_DEP_2) | instskip(SKIP_4) | instid1(VALU_DEP_4)
	v_fma_f64 v[19:20], v[15:16], s[8:9], v[13:14]
	v_fma_f64 v[15:16], v[83:84], s[16:17], v[39:40]
	;; [unrolled: 1-line block ×6, first 2 shown]
	s_delay_alu instid0(VALU_DEP_4) | instskip(NEXT) | instid1(VALU_DEP_4)
	v_fma_f64 v[13:14], v[63:64], s[14:15], v[13:14]
	v_fma_f64 v[37:38], v[63:64], s[8:9], v[37:38]
	s_delay_alu instid0(VALU_DEP_4) | instskip(NEXT) | instid1(VALU_DEP_4)
	v_fma_f64 v[39:40], v[212:213], s[14:15], v[39:40]
	v_fma_f64 v[25:26], v[43:44], s[12:13], v[15:16]
	;; [unrolled: 3-line block ×3, first 2 shown]
	v_fma_f64 v[37:38], v[45:46], s[12:13], v[49:50]
	v_fma_f64 v[43:44], v[43:44], s[12:13], v[39:40]
	v_add_f64 v[49:50], v[93:94], -v[111:112]
	v_add_f64 v[15:16], v[25:26], v[19:20]
	v_add_f64 v[19:20], v[25:26], -v[19:20]
	v_add_f64 v[25:26], v[121:122], -v[129:130]
	v_add_f64 v[121:122], v[139:140], v[21:22]
	v_add_f64 v[21:22], v[210:211], -v[21:22]
	v_add_f64 v[13:14], v[23:24], v[17:18]
	v_add_f64 v[17:18], v[23:24], -v[17:18]
	v_add_f64 v[23:24], v[133:134], -v[206:207]
	v_fma_f64 v[121:122], v[121:122], -0.5, v[203:204]
	v_add_f64 v[35:36], v[35:36], v[21:22]
	s_delay_alu instid0(VALU_DEP_3)
	v_add_f64 v[125:126], v[23:24], v[25:26]
	v_fma_f64 v[23:24], v[59:60], s[16:17], v[9:10]
	v_fma_f64 v[9:10], v[59:60], s[18:19], v[9:10]
	v_add_f64 v[59:60], v[99:100], -v[103:104]
	v_fma_f64 v[21:22], v[55:56], s[18:19], v[121:122]
	v_fma_f64 v[121:122], v[55:56], s[16:17], v[121:122]
	;; [unrolled: 1-line block ×4, first 2 shown]
	v_add_f64 v[57:58], v[91:92], -v[107:108]
	v_fma_f64 v[21:22], v[53:54], s[8:9], v[21:22]
	v_fma_f64 v[121:122], v[53:54], s[14:15], v[121:122]
	;; [unrolled: 1-line block ×4, first 2 shown]
	s_delay_alu instid0(VALU_DEP_4) | instskip(NEXT) | instid1(VALU_DEP_4)
	v_fma_f64 v[21:22], v[35:36], s[12:13], v[21:22]
	v_fma_f64 v[35:36], v[35:36], s[12:13], v[121:122]
	s_delay_alu instid0(VALU_DEP_2) | instskip(SKIP_1) | instid1(VALU_DEP_2)
	v_mul_f64 v[25:26], v[21:22], s[18:19]
	v_mul_f64 v[21:22], v[21:22], s[12:13]
	v_fma_f64 v[25:26], v[23:24], s[12:13], v[25:26]
	s_delay_alu instid0(VALU_DEP_2) | instskip(SKIP_4) | instid1(VALU_DEP_4)
	v_fma_f64 v[27:28], v[23:24], s[16:17], v[21:22]
	v_fma_f64 v[21:22], v[63:64], s[16:17], v[29:30]
	v_fma_f64 v[29:30], v[63:64], s[18:19], v[29:30]
	v_fma_f64 v[23:24], v[212:213], s[18:19], v[31:32]
	v_add_f64 v[63:64], v[97:98], -v[101:102]
	v_fma_f64 v[21:22], v[61:62], s[14:15], v[21:22]
	s_delay_alu instid0(VALU_DEP_4) | instskip(NEXT) | instid1(VALU_DEP_4)
	v_fma_f64 v[29:30], v[61:62], s[8:9], v[29:30]
	v_fma_f64 v[23:24], v[83:84], s[8:9], v[23:24]
	v_add_f64 v[61:62], v[89:90], -v[105:106]
	s_delay_alu instid0(VALU_DEP_4) | instskip(NEXT) | instid1(VALU_DEP_4)
	v_fma_f64 v[123:124], v[125:126], s[12:13], v[21:22]
	v_fma_f64 v[119:120], v[125:126], s[12:13], v[29:30]
	;; [unrolled: 1-line block ×3, first 2 shown]
	v_mul_f64 v[31:32], v[35:36], s[22:23]
	v_fma_f64 v[127:128], v[33:34], s[12:13], v[23:24]
	v_add_f64 v[21:22], v[123:124], v[25:26]
	v_add_f64 v[25:26], v[123:124], -v[25:26]
	v_fma_f64 v[29:30], v[83:84], s[14:15], v[29:30]
	v_add_f64 v[83:84], v[113:114], -v[93:94]
	v_add_f64 v[23:24], v[127:128], v[27:28]
	v_add_f64 v[27:28], v[127:128], -v[27:28]
	s_delay_alu instid0(VALU_DEP_4) | instskip(SKIP_1) | instid1(VALU_DEP_1)
	v_fma_f64 v[121:122], v[33:34], s[12:13], v[29:30]
	v_mul_f64 v[29:30], v[35:36], s[18:19]
	v_fma_f64 v[33:34], v[9:10], s[22:23], v[29:30]
	v_fma_f64 v[9:10], v[9:10], s[16:17], v[31:32]
	s_delay_alu instid0(VALU_DEP_2) | instskip(NEXT) | instid1(VALU_DEP_2)
	v_add_f64 v[29:30], v[119:120], v[33:34]
	v_add_f64 v[31:32], v[121:122], v[9:10]
	v_add_f64 v[35:36], v[121:122], -v[9:10]
	v_fma_f64 v[9:10], v[53:54], s[18:19], v[51:52]
	v_add_f64 v[33:34], v[119:120], -v[33:34]
	v_add_f64 v[51:52], v[113:114], -v[117:118]
	;; [unrolled: 1-line block ×3, first 2 shown]
	s_delay_alu instid0(VALU_DEP_4) | instskip(SKIP_1) | instid1(VALU_DEP_2)
	v_fma_f64 v[9:10], v[55:56], s[14:15], v[9:10]
	v_add_f64 v[55:56], v[115:116], -v[109:110]
	v_fma_f64 v[9:10], v[47:48], s[12:13], v[9:10]
	s_delay_alu instid0(VALU_DEP_1) | instskip(SKIP_1) | instid1(VALU_DEP_2)
	v_mul_f64 v[39:40], v[9:10], s[14:15]
	v_mul_f64 v[9:10], v[9:10], s[24:25]
	v_fma_f64 v[45:46], v[37:38], s[24:25], v[39:40]
	s_delay_alu instid0(VALU_DEP_2) | instskip(NEXT) | instid1(VALU_DEP_2)
	v_fma_f64 v[9:10], v[37:38], s[8:9], v[9:10]
	v_add_f64 v[37:38], v[41:42], v[45:46]
	s_delay_alu instid0(VALU_DEP_2)
	v_add_f64 v[39:40], v[43:44], v[9:10]
	v_add_f64 v[41:42], v[41:42], -v[45:46]
	v_add_f64 v[43:44], v[43:44], -v[9:10]
	ds_load_b128 v[45:48], v246 offset:2048
	s_waitcnt lgkmcnt(0)
	s_barrier
	buffer_gl0_inv
	ds_store_b128 v4, v[0:3]
	ds_store_b128 v4, v[5:8] offset:5120
	ds_store_b128 v4, v[13:16] offset:1024
	;; [unrolled: 1-line block ×9, first 2 shown]
	v_add_f64 v[0:1], v[97:98], v[101:102]
	v_add_f64 v[2:3], v[47:48], v[91:92]
	;; [unrolled: 1-line block ×5, first 2 shown]
	v_add_f64 v[21:22], v[99:100], -v[91:92]
	v_add_f64 v[29:30], v[115:116], -v[95:96]
	;; [unrolled: 1-line block ×3, first 2 shown]
	v_fma_f64 v[33:34], v[0:1], -0.5, v[45:46]
	v_add_f64 v[0:1], v[89:90], v[105:106]
	v_add_f64 v[2:3], v[2:3], v[99:100]
	;; [unrolled: 1-line block ×4, first 2 shown]
	v_fma_f64 v[31:32], v[31:32], -0.5, v[87:88]
	v_fma_f64 v[25:26], v[0:1], -0.5, v[45:46]
	v_add_f64 v[0:1], v[99:100], v[103:104]
	v_add_f64 v[2:3], v[2:3], v[103:104]
	;; [unrolled: 1-line block ×4, first 2 shown]
	s_delay_alu instid0(VALU_DEP_4) | instskip(SKIP_4) | instid1(VALU_DEP_4)
	v_fma_f64 v[35:36], v[0:1], -0.5, v[47:48]
	v_add_f64 v[0:1], v[91:92], v[107:108]
	v_add_f64 v[10:11], v[2:3], v[107:108]
	;; [unrolled: 1-line block ×4, first 2 shown]
	v_fma_f64 v[27:28], v[0:1], -0.5, v[47:48]
	v_add_f64 v[0:1], v[45:46], v[89:90]
	s_delay_alu instid0(VALU_DEP_3) | instskip(SKIP_2) | instid1(VALU_DEP_4)
	v_add_f64 v[2:3], v[10:11], v[6:7]
	v_add_f64 v[6:7], v[10:11], -v[6:7]
	v_add_f64 v[10:11], v[105:106], -v[101:102]
	v_add_f64 v[0:1], v[0:1], v[97:98]
	s_delay_alu instid0(VALU_DEP_1) | instskip(NEXT) | instid1(VALU_DEP_1)
	v_add_f64 v[0:1], v[0:1], v[101:102]
	v_add_f64 v[8:9], v[0:1], v[105:106]
	s_delay_alu instid0(VALU_DEP_1) | instskip(SKIP_2) | instid1(VALU_DEP_1)
	v_add_f64 v[0:1], v[8:9], v[4:5]
	v_add_f64 v[4:5], v[8:9], -v[4:5]
	v_add_f64 v[8:9], v[89:90], -v[97:98]
	v_add_f64 v[37:38], v[8:9], v[10:11]
	v_add_f64 v[8:9], v[91:92], -v[99:100]
	v_add_f64 v[10:11], v[107:108], -v[103:104]
	v_add_f64 v[91:92], v[93:94], v[111:112]
	s_delay_alu instid0(VALU_DEP_2) | instskip(SKIP_3) | instid1(VALU_DEP_2)
	v_add_f64 v[39:40], v[8:9], v[10:11]
	v_add_f64 v[8:9], v[93:94], -v[113:114]
	v_add_f64 v[10:11], v[111:112], -v[117:118]
	v_add_f64 v[93:94], v[21:22], v[23:24]
	v_add_f64 v[41:42], v[8:9], v[10:11]
	v_add_f64 v[8:9], v[95:96], -v[115:116]
	v_add_f64 v[10:11], v[81:82], -v[109:110]
	v_add_f64 v[81:82], v[109:110], -v[81:82]
	s_delay_alu instid0(VALU_DEP_2) | instskip(SKIP_1) | instid1(VALU_DEP_3)
	v_add_f64 v[43:44], v[8:9], v[10:11]
	v_add_f64 v[8:9], v[113:114], v[117:118]
	;; [unrolled: 1-line block ×3, first 2 shown]
	v_fma_f64 v[81:82], v[91:92], -0.5, v[85:86]
	s_delay_alu instid0(VALU_DEP_3) | instskip(SKIP_1) | instid1(VALU_DEP_2)
	v_fma_f64 v[45:46], v[8:9], -0.5, v[85:86]
	v_add_f64 v[8:9], v[115:116], v[109:110]
	v_fma_f64 v[10:11], v[53:54], s[18:19], v[45:46]
	s_delay_alu instid0(VALU_DEP_2) | instskip(SKIP_1) | instid1(VALU_DEP_3)
	v_fma_f64 v[47:48], v[8:9], -0.5, v[87:88]
	v_fma_f64 v[45:46], v[53:54], s[16:17], v[45:46]
	v_fma_f64 v[10:11], v[55:56], s[14:15], v[10:11]
	s_delay_alu instid0(VALU_DEP_3) | instskip(SKIP_1) | instid1(VALU_DEP_4)
	v_fma_f64 v[8:9], v[49:50], s[16:17], v[47:48]
	v_fma_f64 v[47:48], v[49:50], s[18:19], v[47:48]
	;; [unrolled: 1-line block ×3, first 2 shown]
	s_delay_alu instid0(VALU_DEP_4) | instskip(NEXT) | instid1(VALU_DEP_4)
	v_fma_f64 v[10:11], v[41:42], s[12:13], v[10:11]
	v_fma_f64 v[8:9], v[51:52], s[8:9], v[8:9]
	s_delay_alu instid0(VALU_DEP_4) | instskip(NEXT) | instid1(VALU_DEP_4)
	v_fma_f64 v[47:48], v[51:52], s[14:15], v[47:48]
	v_fma_f64 v[41:42], v[41:42], s[12:13], v[45:46]
	s_delay_alu instid0(VALU_DEP_3) | instskip(NEXT) | instid1(VALU_DEP_3)
	v_fma_f64 v[8:9], v[43:44], s[12:13], v[8:9]
	v_fma_f64 v[43:44], v[43:44], s[12:13], v[47:48]
	s_delay_alu instid0(VALU_DEP_2) | instskip(SKIP_1) | instid1(VALU_DEP_2)
	v_mul_f64 v[13:14], v[8:9], s[14:15]
	v_mul_f64 v[8:9], v[8:9], s[20:21]
	v_fma_f64 v[13:14], v[10:11], s[20:21], v[13:14]
	s_delay_alu instid0(VALU_DEP_2) | instskip(SKIP_4) | instid1(VALU_DEP_4)
	v_fma_f64 v[15:16], v[10:11], s[8:9], v[8:9]
	v_fma_f64 v[8:9], v[57:58], s[18:19], v[33:34]
	;; [unrolled: 1-line block ×6, first 2 shown]
	s_delay_alu instid0(VALU_DEP_4) | instskip(NEXT) | instid1(VALU_DEP_4)
	v_fma_f64 v[10:11], v[63:64], s[8:9], v[10:11]
	v_fma_f64 v[33:34], v[59:60], s[8:9], v[33:34]
	s_delay_alu instid0(VALU_DEP_4) | instskip(NEXT) | instid1(VALU_DEP_4)
	v_fma_f64 v[35:36], v[63:64], s[14:15], v[35:36]
	v_fma_f64 v[17:18], v[37:38], s[12:13], v[8:9]
	;; [unrolled: 3-line block ×3, first 2 shown]
	s_delay_alu instid0(VALU_DEP_4)
	v_fma_f64 v[39:40], v[39:40], s[12:13], v[35:36]
	v_mul_f64 v[33:34], v[43:44], s[14:15]
	v_mul_f64 v[35:36], v[43:44], s[24:25]
	v_add_f64 v[8:9], v[17:18], v[13:14]
	v_add_f64 v[10:11], v[19:20], v[15:16]
	v_add_f64 v[13:14], v[17:18], -v[13:14]
	v_add_f64 v[15:16], v[19:20], -v[15:16]
	;; [unrolled: 1-line block ×5, first 2 shown]
	v_fma_f64 v[43:44], v[41:42], s[24:25], v[33:34]
	v_fma_f64 v[41:42], v[41:42], s[8:9], v[35:36]
	s_delay_alu instid0(VALU_DEP_4)
	v_add_f64 v[87:88], v[17:18], v[19:20]
	v_fma_f64 v[17:18], v[51:52], s[18:19], v[31:32]
	v_fma_f64 v[19:20], v[55:56], s[16:17], v[81:82]
	v_add_f64 v[83:84], v[83:84], v[89:90]
	v_fma_f64 v[31:32], v[51:52], s[16:17], v[31:32]
	v_add_f64 v[33:34], v[37:38], v[43:44]
	v_add_f64 v[35:36], v[39:40], v[41:42]
	v_add_f64 v[37:38], v[37:38], -v[43:44]
	v_add_f64 v[39:40], v[39:40], -v[41:42]
	v_fma_f64 v[17:18], v[49:50], s[8:9], v[17:18]
	v_fma_f64 v[19:20], v[53:54], s[14:15], v[19:20]
	;; [unrolled: 1-line block ×3, first 2 shown]
	s_delay_alu instid0(VALU_DEP_3) | instskip(NEXT) | instid1(VALU_DEP_3)
	v_fma_f64 v[17:18], v[29:30], s[12:13], v[17:18]
	v_fma_f64 v[19:20], v[83:84], s[12:13], v[19:20]
	s_delay_alu instid0(VALU_DEP_3) | instskip(SKIP_1) | instid1(VALU_DEP_4)
	v_fma_f64 v[29:30], v[29:30], s[12:13], v[31:32]
	v_fma_f64 v[31:32], v[55:56], s[18:19], v[81:82]
	v_mul_f64 v[21:22], v[17:18], s[18:19]
	v_mul_f64 v[17:18], v[17:18], s[12:13]
	s_delay_alu instid0(VALU_DEP_3) | instskip(NEXT) | instid1(VALU_DEP_3)
	v_fma_f64 v[31:32], v[53:54], s[8:9], v[31:32]
	v_fma_f64 v[21:22], v[19:20], s[12:13], v[21:22]
	s_delay_alu instid0(VALU_DEP_3) | instskip(SKIP_4) | instid1(VALU_DEP_4)
	v_fma_f64 v[23:24], v[19:20], s[16:17], v[17:18]
	v_fma_f64 v[17:18], v[59:60], s[16:17], v[25:26]
	;; [unrolled: 1-line block ×6, first 2 shown]
	s_delay_alu instid0(VALU_DEP_4) | instskip(NEXT) | instid1(VALU_DEP_4)
	v_fma_f64 v[25:26], v[57:58], s[8:9], v[25:26]
	v_fma_f64 v[19:20], v[61:62], s[8:9], v[19:20]
	s_delay_alu instid0(VALU_DEP_3) | instskip(NEXT) | instid1(VALU_DEP_3)
	v_fma_f64 v[85:86], v[87:88], s[12:13], v[17:18]
	v_fma_f64 v[81:82], v[87:88], s[12:13], v[25:26]
	v_fma_f64 v[25:26], v[63:64], s[16:17], v[27:28]
	v_mul_f64 v[27:28], v[29:30], s[22:23]
	v_fma_f64 v[89:90], v[93:94], s[12:13], v[19:20]
	v_add_f64 v[17:18], v[85:86], v[21:22]
	v_add_f64 v[21:22], v[85:86], -v[21:22]
	v_fma_f64 v[25:26], v[61:62], s[14:15], v[25:26]
	s_delay_alu instid0(VALU_DEP_4) | instskip(SKIP_1) | instid1(VALU_DEP_3)
	v_add_f64 v[19:20], v[89:90], v[23:24]
	v_add_f64 v[23:24], v[89:90], -v[23:24]
	v_fma_f64 v[83:84], v[93:94], s[12:13], v[25:26]
	v_mul_f64 v[25:26], v[29:30], s[18:19]
	s_delay_alu instid0(VALU_DEP_1) | instskip(SKIP_1) | instid1(VALU_DEP_2)
	v_fma_f64 v[29:30], v[31:32], s[22:23], v[25:26]
	v_fma_f64 v[31:32], v[31:32], s[16:17], v[27:28]
	v_add_f64 v[25:26], v[81:82], v[29:30]
	s_delay_alu instid0(VALU_DEP_2)
	v_add_f64 v[27:28], v[83:84], v[31:32]
	v_add_f64 v[29:30], v[81:82], -v[29:30]
	v_add_f64 v[31:32], v[83:84], -v[31:32]
	ds_store_b128 v12, v[0:3]
	ds_store_b128 v12, v[8:11] offset:1024
	ds_store_b128 v12, v[17:20] offset:2048
	;; [unrolled: 1-line block ×9, first 2 shown]
	s_waitcnt lgkmcnt(0)
	s_barrier
	buffer_gl0_inv
	ds_load_b128 v[0:3], v246 offset:10240
	s_waitcnt lgkmcnt(0)
	v_mul_f64 v[4:5], v[143:144], v[2:3]
	s_delay_alu instid0(VALU_DEP_1) | instskip(SKIP_1) | instid1(VALU_DEP_1)
	v_fma_f64 v[81:82], v[141:142], v[0:1], v[4:5]
	v_mul_f64 v[0:1], v[143:144], v[0:1]
	v_fma_f64 v[83:84], v[141:142], v[2:3], -v[0:1]
	ds_load_b128 v[0:3], v246 offset:20480
	s_waitcnt lgkmcnt(0)
	v_mul_f64 v[4:5], v[151:152], v[2:3]
	s_delay_alu instid0(VALU_DEP_1) | instskip(SKIP_1) | instid1(VALU_DEP_1)
	v_fma_f64 v[91:92], v[149:150], v[0:1], v[4:5]
	v_mul_f64 v[0:1], v[151:152], v[0:1]
	v_fma_f64 v[95:96], v[149:150], v[2:3], -v[0:1]
	ds_load_b128 v[0:3], v246 offset:30720
	s_waitcnt lgkmcnt(0)
	v_mul_f64 v[4:5], v[147:148], v[2:3]
	s_delay_alu instid0(VALU_DEP_1) | instskip(SKIP_1) | instid1(VALU_DEP_2)
	v_fma_f64 v[99:100], v[145:146], v[0:1], v[4:5]
	v_mul_f64 v[0:1], v[147:148], v[0:1]
	v_add_f64 v[62:63], v[81:82], -v[99:100]
	s_delay_alu instid0(VALU_DEP_2) | instskip(SKIP_4) | instid1(VALU_DEP_2)
	v_fma_f64 v[103:104], v[145:146], v[2:3], -v[0:1]
	ds_load_b128 v[0:3], v246 offset:12288
	s_waitcnt lgkmcnt(0)
	v_mul_f64 v[4:5], v[155:156], v[2:3]
	v_add_f64 v[60:61], v[83:84], -v[103:104]
	v_fma_f64 v[85:86], v[153:154], v[0:1], v[4:5]
	v_mul_f64 v[0:1], v[155:156], v[0:1]
	s_delay_alu instid0(VALU_DEP_1) | instskip(SKIP_3) | instid1(VALU_DEP_1)
	v_fma_f64 v[87:88], v[153:154], v[2:3], -v[0:1]
	ds_load_b128 v[0:3], v246 offset:22528
	s_waitcnt lgkmcnt(0)
	v_mul_f64 v[4:5], v[159:160], v[2:3]
	v_fma_f64 v[4:5], v[157:158], v[0:1], v[4:5]
	v_mul_f64 v[0:1], v[159:160], v[0:1]
	s_delay_alu instid0(VALU_DEP_1) | instskip(SKIP_3) | instid1(VALU_DEP_1)
	v_fma_f64 v[6:7], v[157:158], v[2:3], -v[0:1]
	ds_load_b128 v[0:3], v246 offset:32768
	s_waitcnt lgkmcnt(0)
	v_mul_f64 v[8:9], v[163:164], v[2:3]
	v_fma_f64 v[8:9], v[161:162], v[0:1], v[8:9]
	v_mul_f64 v[0:1], v[163:164], v[0:1]
	s_delay_alu instid0(VALU_DEP_2) | instskip(NEXT) | instid1(VALU_DEP_2)
	v_add_f64 v[34:35], v[85:86], -v[8:9]
	v_fma_f64 v[10:11], v[161:162], v[2:3], -v[0:1]
	ds_load_b128 v[0:3], v246 offset:14336
	s_waitcnt lgkmcnt(0)
	v_mul_f64 v[12:13], v[167:168], v[2:3]
	v_add_f64 v[32:33], v[87:88], -v[10:11]
	s_delay_alu instid0(VALU_DEP_2) | instskip(SKIP_1) | instid1(VALU_DEP_1)
	v_fma_f64 v[89:90], v[165:166], v[0:1], v[12:13]
	v_mul_f64 v[0:1], v[167:168], v[0:1]
	v_fma_f64 v[93:94], v[165:166], v[2:3], -v[0:1]
	ds_load_b128 v[0:3], v246 offset:24576
	s_waitcnt lgkmcnt(0)
	v_mul_f64 v[12:13], v[171:172], v[2:3]
	s_delay_alu instid0(VALU_DEP_1) | instskip(SKIP_1) | instid1(VALU_DEP_1)
	v_fma_f64 v[109:110], v[169:170], v[0:1], v[12:13]
	v_mul_f64 v[0:1], v[171:172], v[0:1]
	v_fma_f64 v[113:114], v[169:170], v[2:3], -v[0:1]
	ds_load_b128 v[0:3], v246 offset:34816
	s_waitcnt lgkmcnt(0)
	v_mul_f64 v[12:13], v[175:176], v[2:3]
	s_delay_alu instid0(VALU_DEP_1) | instskip(SKIP_1) | instid1(VALU_DEP_2)
	v_fma_f64 v[111:112], v[173:174], v[0:1], v[12:13]
	v_mul_f64 v[0:1], v[175:176], v[0:1]
	v_add_f64 v[42:43], v[89:90], -v[111:112]
	s_delay_alu instid0(VALU_DEP_2) | instskip(SKIP_4) | instid1(VALU_DEP_2)
	v_fma_f64 v[115:116], v[173:174], v[2:3], -v[0:1]
	ds_load_b128 v[0:3], v246 offset:16384
	s_waitcnt lgkmcnt(0)
	v_mul_f64 v[12:13], v[179:180], v[2:3]
	v_add_f64 v[40:41], v[93:94], -v[115:116]
	v_fma_f64 v[97:98], v[177:178], v[0:1], v[12:13]
	v_mul_f64 v[0:1], v[179:180], v[0:1]
	s_delay_alu instid0(VALU_DEP_1) | instskip(SKIP_3) | instid1(VALU_DEP_1)
	v_fma_f64 v[101:102], v[177:178], v[2:3], -v[0:1]
	ds_load_b128 v[0:3], v246 offset:26624
	s_waitcnt lgkmcnt(0)
	v_mul_f64 v[12:13], v[183:184], v[2:3]
	v_fma_f64 v[117:118], v[181:182], v[0:1], v[12:13]
	v_mul_f64 v[0:1], v[183:184], v[0:1]
	s_delay_alu instid0(VALU_DEP_1) | instskip(SKIP_3) | instid1(VALU_DEP_1)
	v_fma_f64 v[121:122], v[181:182], v[2:3], -v[0:1]
	ds_load_b128 v[0:3], v246 offset:36864
	s_waitcnt lgkmcnt(0)
	v_mul_f64 v[12:13], v[187:188], v[2:3]
	v_fma_f64 v[119:120], v[185:186], v[0:1], v[12:13]
	v_mul_f64 v[0:1], v[187:188], v[0:1]
	s_delay_alu instid0(VALU_DEP_2) | instskip(NEXT) | instid1(VALU_DEP_2)
	v_add_f64 v[50:51], v[97:98], -v[119:120]
	v_fma_f64 v[123:124], v[185:186], v[2:3], -v[0:1]
	ds_load_b128 v[0:3], v246 offset:18432
	s_waitcnt lgkmcnt(0)
	v_mul_f64 v[12:13], v[191:192], v[2:3]
	v_add_f64 v[48:49], v[101:102], -v[123:124]
	s_delay_alu instid0(VALU_DEP_2) | instskip(SKIP_1) | instid1(VALU_DEP_1)
	v_fma_f64 v[105:106], v[189:190], v[0:1], v[12:13]
	v_mul_f64 v[0:1], v[191:192], v[0:1]
	v_fma_f64 v[107:108], v[189:190], v[2:3], -v[0:1]
	ds_load_b128 v[0:3], v246 offset:28672
	s_waitcnt lgkmcnt(0)
	v_mul_f64 v[12:13], v[199:200], v[2:3]
	s_delay_alu instid0(VALU_DEP_1) | instskip(SKIP_1) | instid1(VALU_DEP_1)
	v_fma_f64 v[125:126], v[197:198], v[0:1], v[12:13]
	v_mul_f64 v[0:1], v[199:200], v[0:1]
	v_fma_f64 v[129:130], v[197:198], v[2:3], -v[0:1]
	ds_load_b128 v[0:3], v246 offset:38912
	s_waitcnt lgkmcnt(0)
	v_mul_f64 v[12:13], v[195:196], v[2:3]
	s_delay_alu instid0(VALU_DEP_1) | instskip(SKIP_1) | instid1(VALU_DEP_2)
	v_fma_f64 v[127:128], v[193:194], v[0:1], v[12:13]
	v_mul_f64 v[0:1], v[195:196], v[0:1]
	v_add_f64 v[58:59], v[105:106], -v[127:128]
	s_delay_alu instid0(VALU_DEP_2)
	v_fma_f64 v[131:132], v[193:194], v[2:3], -v[0:1]
	ds_load_b128 v[0:3], v246 offset:2048
	s_waitcnt lgkmcnt(0)
	v_add_f64 v[4:5], v[0:1], -v[4:5]
	v_add_f64 v[6:7], v[2:3], -v[6:7]
	;; [unrolled: 1-line block ×3, first 2 shown]
	s_delay_alu instid0(VALU_DEP_3) | instskip(NEXT) | instid1(VALU_DEP_3)
	v_fma_f64 v[28:29], v[0:1], 2.0, -v[4:5]
	v_fma_f64 v[30:31], v[2:3], 2.0, -v[6:7]
	v_add_f64 v[0:1], v[4:5], v[32:33]
	v_add_f64 v[2:3], v[6:7], -v[34:35]
	s_delay_alu instid0(VALU_DEP_2) | instskip(NEXT) | instid1(VALU_DEP_2)
	v_fma_f64 v[4:5], v[4:5], 2.0, -v[0:1]
	v_fma_f64 v[6:7], v[6:7], 2.0, -v[2:3]
	ds_store_b128 v246, v[0:3] offset:32768
	ds_load_b128 v[0:3], v246 offset:4096
	s_waitcnt lgkmcnt(0)
	v_add_f64 v[8:9], v[0:1], -v[109:110]
	v_add_f64 v[10:11], v[2:3], -v[113:114]
	s_delay_alu instid0(VALU_DEP_2) | instskip(NEXT) | instid1(VALU_DEP_2)
	v_fma_f64 v[36:37], v[0:1], 2.0, -v[8:9]
	v_fma_f64 v[38:39], v[2:3], 2.0, -v[10:11]
	v_add_f64 v[0:1], v[8:9], v[40:41]
	v_add_f64 v[2:3], v[10:11], -v[42:43]
	s_delay_alu instid0(VALU_DEP_2) | instskip(NEXT) | instid1(VALU_DEP_2)
	v_fma_f64 v[8:9], v[8:9], 2.0, -v[0:1]
	v_fma_f64 v[10:11], v[10:11], 2.0, -v[2:3]
	ds_store_b128 v246, v[0:3] offset:34816
	ds_load_b128 v[0:3], v246 offset:6144
	s_waitcnt lgkmcnt(0)
	v_add_f64 v[12:13], v[0:1], -v[117:118]
	v_add_f64 v[14:15], v[2:3], -v[121:122]
	s_delay_alu instid0(VALU_DEP_2) | instskip(NEXT) | instid1(VALU_DEP_2)
	v_fma_f64 v[44:45], v[0:1], 2.0, -v[12:13]
	v_fma_f64 v[46:47], v[2:3], 2.0, -v[14:15]
	v_add_f64 v[0:1], v[12:13], v[48:49]
	v_add_f64 v[2:3], v[14:15], -v[50:51]
	s_delay_alu instid0(VALU_DEP_2) | instskip(NEXT) | instid1(VALU_DEP_2)
	v_fma_f64 v[12:13], v[12:13], 2.0, -v[0:1]
	v_fma_f64 v[14:15], v[14:15], 2.0, -v[2:3]
	ds_store_b128 v246, v[0:3] offset:36864
	ds_load_b128 v[0:3], v246 offset:8192
	s_waitcnt lgkmcnt(0)
	v_add_f64 v[16:17], v[0:1], -v[125:126]
	v_add_f64 v[18:19], v[2:3], -v[129:130]
	s_delay_alu instid0(VALU_DEP_2) | instskip(NEXT) | instid1(VALU_DEP_2)
	v_fma_f64 v[52:53], v[0:1], 2.0, -v[16:17]
	v_fma_f64 v[54:55], v[2:3], 2.0, -v[18:19]
	v_add_f64 v[0:1], v[16:17], v[56:57]
	v_add_f64 v[2:3], v[18:19], -v[58:59]
	s_delay_alu instid0(VALU_DEP_2) | instskip(NEXT) | instid1(VALU_DEP_2)
	v_fma_f64 v[16:17], v[16:17], 2.0, -v[0:1]
	v_fma_f64 v[18:19], v[18:19], 2.0, -v[2:3]
	ds_store_b128 v246, v[0:3] offset:38912
	ds_load_b128 v[0:3], v246
	s_waitcnt lgkmcnt(0)
	v_add_f64 v[20:21], v[0:1], -v[91:92]
	v_add_f64 v[22:23], v[2:3], -v[95:96]
	s_delay_alu instid0(VALU_DEP_2) | instskip(NEXT) | instid1(VALU_DEP_2)
	v_fma_f64 v[24:25], v[0:1], 2.0, -v[20:21]
	v_fma_f64 v[26:27], v[2:3], 2.0, -v[22:23]
	v_add_f64 v[0:1], v[20:21], v[60:61]
	v_add_f64 v[2:3], v[22:23], -v[62:63]
	s_delay_alu instid0(VALU_DEP_2) | instskip(NEXT) | instid1(VALU_DEP_2)
	v_fma_f64 v[20:21], v[20:21], 2.0, -v[0:1]
	v_fma_f64 v[22:23], v[22:23], 2.0, -v[2:3]
	ds_store_b128 v246, v[0:3] offset:30720
	v_fma_f64 v[0:1], v[81:82], 2.0, -v[62:63]
	v_fma_f64 v[2:3], v[83:84], 2.0, -v[60:61]
	s_delay_alu instid0(VALU_DEP_2) | instskip(NEXT) | instid1(VALU_DEP_2)
	v_add_f64 v[0:1], v[24:25], -v[0:1]
	v_add_f64 v[2:3], v[26:27], -v[2:3]
	s_delay_alu instid0(VALU_DEP_2) | instskip(NEXT) | instid1(VALU_DEP_2)
	v_fma_f64 v[24:25], v[24:25], 2.0, -v[0:1]
	v_fma_f64 v[26:27], v[26:27], 2.0, -v[2:3]
	ds_store_b128 v246, v[0:3] offset:20480
	v_fma_f64 v[0:1], v[85:86], 2.0, -v[34:35]
	v_fma_f64 v[2:3], v[87:88], 2.0, -v[32:33]
	s_delay_alu instid0(VALU_DEP_2) | instskip(NEXT) | instid1(VALU_DEP_2)
	v_add_f64 v[0:1], v[28:29], -v[0:1]
	v_add_f64 v[2:3], v[30:31], -v[2:3]
	ds_store_b128 v246, v[0:3] offset:22528
	ds_store_b128 v246, v[4:7] offset:12288
	;; [unrolled: 1-line block ×3, first 2 shown]
	v_fma_f64 v[28:29], v[28:29], 2.0, -v[0:1]
	v_fma_f64 v[30:31], v[30:31], 2.0, -v[2:3]
	;; [unrolled: 1-line block ×4, first 2 shown]
	s_delay_alu instid0(VALU_DEP_2) | instskip(NEXT) | instid1(VALU_DEP_2)
	v_add_f64 v[0:1], v[36:37], -v[0:1]
	v_add_f64 v[2:3], v[38:39], -v[2:3]
	s_delay_alu instid0(VALU_DEP_2) | instskip(NEXT) | instid1(VALU_DEP_2)
	v_fma_f64 v[4:5], v[36:37], 2.0, -v[0:1]
	v_fma_f64 v[6:7], v[38:39], 2.0, -v[2:3]
	ds_store_b128 v246, v[0:3] offset:24576
	v_fma_f64 v[0:1], v[97:98], 2.0, -v[50:51]
	v_fma_f64 v[2:3], v[101:102], 2.0, -v[48:49]
	s_delay_alu instid0(VALU_DEP_2) | instskip(NEXT) | instid1(VALU_DEP_2)
	v_add_f64 v[0:1], v[44:45], -v[0:1]
	v_add_f64 v[2:3], v[46:47], -v[2:3]
	ds_store_b128 v246, v[0:3] offset:26624
	ds_store_b128 v246, v[12:15] offset:16384
	;; [unrolled: 1-line block ×3, first 2 shown]
	v_fma_f64 v[8:9], v[44:45], 2.0, -v[0:1]
	v_fma_f64 v[10:11], v[46:47], 2.0, -v[2:3]
	;; [unrolled: 1-line block ×4, first 2 shown]
	s_delay_alu instid0(VALU_DEP_2) | instskip(NEXT) | instid1(VALU_DEP_2)
	v_add_f64 v[0:1], v[52:53], -v[0:1]
	v_add_f64 v[2:3], v[54:55], -v[2:3]
	s_delay_alu instid0(VALU_DEP_2) | instskip(NEXT) | instid1(VALU_DEP_2)
	v_fma_f64 v[12:13], v[52:53], 2.0, -v[0:1]
	v_fma_f64 v[14:15], v[54:55], 2.0, -v[2:3]
	ds_store_b128 v246, v[0:3] offset:28672
	ds_store_b128 v246, v[20:23] offset:10240
	ds_store_b128 v246, v[24:27]
	ds_store_b128 v246, v[28:31] offset:2048
	ds_store_b128 v246, v[4:7] offset:4096
	;; [unrolled: 1-line block ×4, first 2 shown]
	s_waitcnt lgkmcnt(0)
	s_barrier
	buffer_gl0_inv
	s_clause 0x5
	scratch_load_b128 v[6:9], off, off offset:216
	scratch_load_b128 v[58:61], off, off offset:200
	;; [unrolled: 1-line block ×6, first 2 shown]
	ds_load_b128 v[0:3], v246
	s_clause 0x7
	scratch_load_b128 v[26:29], off, off offset:72
	scratch_load_b128 v[30:33], off, off offset:88
	;; [unrolled: 1-line block ×8, first 2 shown]
	s_waitcnt vmcnt(13) lgkmcnt(0)
	v_mul_f64 v[4:5], v[8:9], v[2:3]
	s_delay_alu instid0(VALU_DEP_1) | instskip(SKIP_1) | instid1(VALU_DEP_1)
	v_fma_f64 v[4:5], v[6:7], v[0:1], v[4:5]
	v_mul_f64 v[0:1], v[8:9], v[0:1]
	v_fma_f64 v[6:7], v[6:7], v[2:3], -v[0:1]
	ds_load_b128 v[0:3], v246 offset:10240
	s_waitcnt vmcnt(11) lgkmcnt(0)
	v_mul_f64 v[8:9], v[12:13], v[2:3]
	s_delay_alu instid0(VALU_DEP_1) | instskip(SKIP_1) | instid1(VALU_DEP_1)
	v_fma_f64 v[8:9], v[10:11], v[0:1], v[8:9]
	v_mul_f64 v[0:1], v[12:13], v[0:1]
	v_fma_f64 v[10:11], v[10:11], v[2:3], -v[0:1]
	ds_load_b128 v[0:3], v246 offset:20480
	;; [unrolled: 7-line block ×4, first 2 shown]
	s_waitcnt lgkmcnt(0)
	v_mul_f64 v[20:21], v[24:25], v[2:3]
	s_delay_alu instid0(VALU_DEP_1) | instskip(SKIP_1) | instid1(VALU_DEP_1)
	v_fma_f64 v[20:21], v[22:23], v[0:1], v[20:21]
	v_mul_f64 v[0:1], v[24:25], v[0:1]
	v_fma_f64 v[22:23], v[22:23], v[2:3], -v[0:1]
	ds_load_b128 v[0:3], v246 offset:12288
	s_waitcnt vmcnt(7) lgkmcnt(0)
	v_mul_f64 v[24:25], v[28:29], v[2:3]
	s_delay_alu instid0(VALU_DEP_1) | instskip(SKIP_1) | instid1(VALU_DEP_1)
	v_fma_f64 v[24:25], v[26:27], v[0:1], v[24:25]
	v_mul_f64 v[0:1], v[28:29], v[0:1]
	v_fma_f64 v[26:27], v[26:27], v[2:3], -v[0:1]
	ds_load_b128 v[0:3], v246 offset:22528
	s_waitcnt vmcnt(6) lgkmcnt(0)
	;; [unrolled: 7-line block ×8, first 2 shown]
	v_mul_f64 v[52:53], v[56:57], v[2:3]
	s_delay_alu instid0(VALU_DEP_1) | instskip(SKIP_1) | instid1(VALU_DEP_1)
	v_fma_f64 v[52:53], v[54:55], v[0:1], v[52:53]
	v_mul_f64 v[0:1], v[56:57], v[0:1]
	v_fma_f64 v[54:55], v[54:55], v[2:3], -v[0:1]
	ds_load_b128 v[0:3], v246 offset:16384
	s_waitcnt lgkmcnt(0)
	v_mul_f64 v[56:57], v[60:61], v[2:3]
	s_delay_alu instid0(VALU_DEP_1) | instskip(SKIP_1) | instid1(VALU_DEP_1)
	v_fma_f64 v[56:57], v[58:59], v[0:1], v[56:57]
	v_mul_f64 v[0:1], v[60:61], v[0:1]
	v_fma_f64 v[58:59], v[58:59], v[2:3], -v[0:1]
	ds_load_b128 v[0:3], v246 offset:26624
	s_waitcnt lgkmcnt(0)
	;; [unrolled: 7-line block ×7, first 2 shown]
	v_mul_f64 v[74:75], v[79:80], v[2:3]
	s_delay_alu instid0(VALU_DEP_1) | instskip(SKIP_1) | instid1(VALU_DEP_1)
	v_fma_f64 v[74:75], v[77:78], v[0:1], v[74:75]
	v_mul_f64 v[0:1], v[79:80], v[0:1]
	v_fma_f64 v[76:77], v[77:78], v[2:3], -v[0:1]
	scratch_load_b64 v[78:79], off, off     ; 8-byte Folded Reload
	s_waitcnt vmcnt(0)
	v_mad_u64_u32 v[0:1], null, s6, v78, 0
	s_mul_i32 s6, s4, 0x2800
	s_delay_alu instid0(VALU_DEP_1) | instskip(NEXT) | instid1(VALU_DEP_1)
	v_mad_u64_u32 v[2:3], null, s7, v78, v[1:2]
	v_mov_b32_e32 v1, v2
	v_mad_u64_u32 v[2:3], null, s4, v255, 0
	s_mulk_i32 s4, 0x9000
	s_delay_alu instid0(VALU_DEP_2) | instskip(NEXT) | instid1(VALU_DEP_2)
	v_lshlrev_b64 v[0:1], 4, v[0:1]
	v_mad_u64_u32 v[78:79], null, s5, v255, v[3:4]
	s_mulk_i32 s5, 0x9000
	s_delay_alu instid0(SALU_CYCLE_1) | instskip(NEXT) | instid1(VALU_DEP_1)
	s_add_i32 s2, s2, s5
	v_mov_b32_e32 v3, v78
	s_delay_alu instid0(VALU_DEP_3) | instskip(SKIP_1) | instid1(VALU_DEP_3)
	v_add_co_u32 v78, vcc_lo, s0, v0
	v_add_co_ci_u32_e32 v79, vcc_lo, s1, v1, vcc_lo
	v_lshlrev_b64 v[0:1], 4, v[2:3]
	s_mov_b32 s0, 0x9999999a
	s_mov_b32 s1, 0x3f399999
	s_delay_alu instid0(SALU_CYCLE_1) | instskip(SKIP_1) | instid1(VALU_DEP_3)
	v_mul_f64 v[2:3], v[6:7], s[0:1]
	v_mul_f64 v[6:7], v[34:35], s[0:1]
	v_add_co_u32 v78, vcc_lo, v78, v0
	v_add_co_ci_u32_e32 v79, vcc_lo, v79, v1, vcc_lo
	v_mul_f64 v[0:1], v[4:5], s[0:1]
	s_delay_alu instid0(VALU_DEP_3) | instskip(NEXT) | instid1(VALU_DEP_3)
	v_add_co_u32 v4, vcc_lo, v78, s6
	v_add_co_ci_u32_e32 v5, vcc_lo, s3, v79, vcc_lo
	v_mul_f64 v[34:35], v[64:65], s[0:1]
	global_store_b128 v[78:79], v[0:3], off
	v_mul_f64 v[0:1], v[8:9], s[0:1]
	v_mul_f64 v[2:3], v[10:11], s[0:1]
	global_store_b128 v[4:5], v[0:3], off
	v_mul_f64 v[0:1], v[12:13], s[0:1]
	v_mul_f64 v[2:3], v[14:15], s[0:1]
	v_add_co_u32 v4, vcc_lo, v4, s6
	v_add_co_ci_u32_e32 v5, vcc_lo, s3, v5, vcc_lo
	v_mul_f64 v[12:13], v[48:49], s[0:1]
	v_mul_f64 v[14:15], v[50:51], s[0:1]
	global_store_b128 v[4:5], v[0:3], off
	v_mul_f64 v[0:1], v[16:17], s[0:1]
	v_mul_f64 v[2:3], v[18:19], s[0:1]
	v_add_co_u32 v4, vcc_lo, v4, s6
	v_add_co_ci_u32_e32 v5, vcc_lo, s3, v5, vcc_lo
	;; [unrolled: 7-line block ×3, first 2 shown]
	v_mul_f64 v[20:21], v[56:57], s[0:1]
	s_delay_alu instid0(VALU_DEP_3) | instskip(NEXT) | instid1(VALU_DEP_3)
	v_add_co_u32 v8, vcc_lo, v4, s6
	v_add_co_ci_u32_e32 v9, vcc_lo, s3, v5, vcc_lo
	v_mul_f64 v[22:23], v[58:59], s[0:1]
	global_store_b128 v[4:5], v[0:3], off
	v_mul_f64 v[0:1], v[24:25], s[0:1]
	v_mul_f64 v[2:3], v[26:27], s[0:1]
	;; [unrolled: 1-line block ×6, first 2 shown]
	global_store_b128 v[8:9], v[0:3], off
	v_mul_f64 v[0:1], v[28:29], s[0:1]
	v_mul_f64 v[2:3], v[30:31], s[0:1]
	v_add_co_u32 v8, vcc_lo, v8, s6
	v_add_co_ci_u32_e32 v9, vcc_lo, s3, v9, vcc_lo
	v_mul_f64 v[28:29], v[81:82], s[0:1]
	s_delay_alu instid0(VALU_DEP_3) | instskip(NEXT) | instid1(VALU_DEP_3)
	v_add_co_u32 v10, vcc_lo, v8, s6
	v_add_co_ci_u32_e32 v11, vcc_lo, s3, v9, vcc_lo
	v_mul_f64 v[30:31], v[83:84], s[0:1]
	s_delay_alu instid0(VALU_DEP_3) | instskip(NEXT) | instid1(VALU_DEP_3)
	v_add_co_u32 v78, vcc_lo, v10, s4
	v_add_co_ci_u32_e32 v79, vcc_lo, s2, v11, vcc_lo
	s_delay_alu instid0(VALU_DEP_2) | instskip(NEXT) | instid1(VALU_DEP_2)
	v_add_co_u32 v87, vcc_lo, v78, s6
	v_add_co_ci_u32_e32 v88, vcc_lo, s3, v79, vcc_lo
	s_delay_alu instid0(VALU_DEP_2) | instskip(NEXT) | instid1(VALU_DEP_2)
	;; [unrolled: 3-line block ×4, first 2 shown]
	v_add_co_u32 v93, vcc_lo, v91, s4
	v_add_co_ci_u32_e32 v94, vcc_lo, s2, v92, vcc_lo
	s_delay_alu instid0(VALU_DEP_2)
	v_add_co_u32 v48, vcc_lo, v93, s6
	global_store_b128 v[8:9], v[0:3], off
	v_mul_f64 v[0:1], v[36:37], s[0:1]
	v_mul_f64 v[2:3], v[38:39], s[0:1]
	global_store_b128 v[10:11], v[4:7], off
	v_mul_f64 v[4:5], v[40:41], s[0:1]
	v_mul_f64 v[6:7], v[42:43], s[0:1]
	;; [unrolled: 1-line block ×8, first 2 shown]
	v_add_co_ci_u32_e32 v49, vcc_lo, s3, v94, vcc_lo
	v_mul_f64 v[44:45], v[74:75], s[0:1]
	v_mul_f64 v[46:47], v[76:77], s[0:1]
	global_store_b128 v[78:79], v[0:3], off
	v_add_co_u32 v0, vcc_lo, v48, s6
	v_add_co_ci_u32_e32 v1, vcc_lo, s3, v49, vcc_lo
	global_store_b128 v[87:88], v[4:7], off
	v_add_co_u32 v2, vcc_lo, v0, s6
	v_add_co_ci_u32_e32 v3, vcc_lo, s3, v1, vcc_lo
	s_delay_alu instid0(VALU_DEP_2) | instskip(NEXT) | instid1(VALU_DEP_2)
	v_add_co_u32 v50, vcc_lo, v2, s4
	v_add_co_ci_u32_e32 v51, vcc_lo, s2, v3, vcc_lo
	s_delay_alu instid0(VALU_DEP_2) | instskip(NEXT) | instid1(VALU_DEP_2)
	;; [unrolled: 3-line block ×4, first 2 shown]
	v_add_co_u32 v52, vcc_lo, v6, s6
	v_add_co_ci_u32_e32 v53, vcc_lo, s3, v7, vcc_lo
	global_store_b128 v[89:90], v[8:11], off
	global_store_b128 v[91:92], v[12:15], off
	;; [unrolled: 1-line block ×10, first 2 shown]
.LBB0_2:
	s_nop 0
	s_sendmsg sendmsg(MSG_DEALLOC_VGPRS)
	s_endpgm
	.section	.rodata,"a",@progbits
	.p2align	6, 0x0
	.amdhsa_kernel bluestein_single_fwd_len2560_dim1_dp_op_CI_CI
		.amdhsa_group_segment_fixed_size 40960
		.amdhsa_private_segment_fixed_size 260
		.amdhsa_kernarg_size 104
		.amdhsa_user_sgpr_count 15
		.amdhsa_user_sgpr_dispatch_ptr 0
		.amdhsa_user_sgpr_queue_ptr 0
		.amdhsa_user_sgpr_kernarg_segment_ptr 1
		.amdhsa_user_sgpr_dispatch_id 0
		.amdhsa_user_sgpr_private_segment_size 0
		.amdhsa_wavefront_size32 1
		.amdhsa_uses_dynamic_stack 0
		.amdhsa_enable_private_segment 1
		.amdhsa_system_sgpr_workgroup_id_x 1
		.amdhsa_system_sgpr_workgroup_id_y 0
		.amdhsa_system_sgpr_workgroup_id_z 0
		.amdhsa_system_sgpr_workgroup_info 0
		.amdhsa_system_vgpr_workitem_id 0
		.amdhsa_next_free_vgpr 256
		.amdhsa_next_free_sgpr 26
		.amdhsa_reserve_vcc 1
		.amdhsa_float_round_mode_32 0
		.amdhsa_float_round_mode_16_64 0
		.amdhsa_float_denorm_mode_32 3
		.amdhsa_float_denorm_mode_16_64 3
		.amdhsa_dx10_clamp 1
		.amdhsa_ieee_mode 1
		.amdhsa_fp16_overflow 0
		.amdhsa_workgroup_processor_mode 1
		.amdhsa_memory_ordered 1
		.amdhsa_forward_progress 0
		.amdhsa_shared_vgpr_count 0
		.amdhsa_exception_fp_ieee_invalid_op 0
		.amdhsa_exception_fp_denorm_src 0
		.amdhsa_exception_fp_ieee_div_zero 0
		.amdhsa_exception_fp_ieee_overflow 0
		.amdhsa_exception_fp_ieee_underflow 0
		.amdhsa_exception_fp_ieee_inexact 0
		.amdhsa_exception_int_div_zero 0
	.end_amdhsa_kernel
	.text
.Lfunc_end0:
	.size	bluestein_single_fwd_len2560_dim1_dp_op_CI_CI, .Lfunc_end0-bluestein_single_fwd_len2560_dim1_dp_op_CI_CI
                                        ; -- End function
	.section	.AMDGPU.csdata,"",@progbits
; Kernel info:
; codeLenInByte = 26012
; NumSgprs: 28
; NumVgprs: 256
; ScratchSize: 260
; MemoryBound: 0
; FloatMode: 240
; IeeeMode: 1
; LDSByteSize: 40960 bytes/workgroup (compile time only)
; SGPRBlocks: 3
; VGPRBlocks: 31
; NumSGPRsForWavesPerEU: 28
; NumVGPRsForWavesPerEU: 256
; Occupancy: 3
; WaveLimiterHint : 1
; COMPUTE_PGM_RSRC2:SCRATCH_EN: 1
; COMPUTE_PGM_RSRC2:USER_SGPR: 15
; COMPUTE_PGM_RSRC2:TRAP_HANDLER: 0
; COMPUTE_PGM_RSRC2:TGID_X_EN: 1
; COMPUTE_PGM_RSRC2:TGID_Y_EN: 0
; COMPUTE_PGM_RSRC2:TGID_Z_EN: 0
; COMPUTE_PGM_RSRC2:TIDIG_COMP_CNT: 0
	.text
	.p2alignl 7, 3214868480
	.fill 96, 4, 3214868480
	.type	__hip_cuid_a23d1a955e7f2840,@object ; @__hip_cuid_a23d1a955e7f2840
	.section	.bss,"aw",@nobits
	.globl	__hip_cuid_a23d1a955e7f2840
__hip_cuid_a23d1a955e7f2840:
	.byte	0                               ; 0x0
	.size	__hip_cuid_a23d1a955e7f2840, 1

	.ident	"AMD clang version 19.0.0git (https://github.com/RadeonOpenCompute/llvm-project roc-6.4.0 25133 c7fe45cf4b819c5991fe208aaa96edf142730f1d)"
	.section	".note.GNU-stack","",@progbits
	.addrsig
	.addrsig_sym __hip_cuid_a23d1a955e7f2840
	.amdgpu_metadata
---
amdhsa.kernels:
  - .args:
      - .actual_access:  read_only
        .address_space:  global
        .offset:         0
        .size:           8
        .value_kind:     global_buffer
      - .actual_access:  read_only
        .address_space:  global
        .offset:         8
        .size:           8
        .value_kind:     global_buffer
      - .actual_access:  read_only
        .address_space:  global
        .offset:         16
        .size:           8
        .value_kind:     global_buffer
      - .actual_access:  read_only
        .address_space:  global
        .offset:         24
        .size:           8
        .value_kind:     global_buffer
      - .actual_access:  read_only
        .address_space:  global
        .offset:         32
        .size:           8
        .value_kind:     global_buffer
      - .offset:         40
        .size:           8
        .value_kind:     by_value
      - .address_space:  global
        .offset:         48
        .size:           8
        .value_kind:     global_buffer
      - .address_space:  global
        .offset:         56
        .size:           8
        .value_kind:     global_buffer
      - .address_space:  global
        .offset:         64
        .size:           8
        .value_kind:     global_buffer
      - .address_space:  global
        .offset:         72
        .size:           8
        .value_kind:     global_buffer
      - .offset:         80
        .size:           4
        .value_kind:     by_value
      - .address_space:  global
        .offset:         88
        .size:           8
        .value_kind:     global_buffer
      - .address_space:  global
        .offset:         96
        .size:           8
        .value_kind:     global_buffer
    .group_segment_fixed_size: 40960
    .kernarg_segment_align: 8
    .kernarg_segment_size: 104
    .language:       OpenCL C
    .language_version:
      - 2
      - 0
    .max_flat_workgroup_size: 128
    .name:           bluestein_single_fwd_len2560_dim1_dp_op_CI_CI
    .private_segment_fixed_size: 260
    .sgpr_count:     28
    .sgpr_spill_count: 0
    .symbol:         bluestein_single_fwd_len2560_dim1_dp_op_CI_CI.kd
    .uniform_work_group_size: 1
    .uses_dynamic_stack: false
    .vgpr_count:     256
    .vgpr_spill_count: 64
    .wavefront_size: 32
    .workgroup_processor_mode: 1
amdhsa.target:   amdgcn-amd-amdhsa--gfx1100
amdhsa.version:
  - 1
  - 2
...

	.end_amdgpu_metadata
